;; amdgpu-corpus repo=ROCm/rocFFT kind=compiled arch=gfx950 opt=O3
	.text
	.amdgcn_target "amdgcn-amd-amdhsa--gfx950"
	.amdhsa_code_object_version 6
	.protected	fft_rtc_back_len338_factors_13_2_13_wgs_52_tpt_26_halfLds_sp_op_CI_CI_unitstride_sbrr_dirReg ; -- Begin function fft_rtc_back_len338_factors_13_2_13_wgs_52_tpt_26_halfLds_sp_op_CI_CI_unitstride_sbrr_dirReg
	.globl	fft_rtc_back_len338_factors_13_2_13_wgs_52_tpt_26_halfLds_sp_op_CI_CI_unitstride_sbrr_dirReg
	.p2align	8
	.type	fft_rtc_back_len338_factors_13_2_13_wgs_52_tpt_26_halfLds_sp_op_CI_CI_unitstride_sbrr_dirReg,@function
fft_rtc_back_len338_factors_13_2_13_wgs_52_tpt_26_halfLds_sp_op_CI_CI_unitstride_sbrr_dirReg: ; @fft_rtc_back_len338_factors_13_2_13_wgs_52_tpt_26_halfLds_sp_op_CI_CI_unitstride_sbrr_dirReg
; %bb.0:
	s_load_dwordx4 s[4:7], s[0:1], 0x58
	s_load_dwordx4 s[8:11], s[0:1], 0x0
	;; [unrolled: 1-line block ×3, first 2 shown]
	v_mul_u32_u24_e32 v1, 0x9d9, v0
	v_lshrrev_b32_e32 v54, 16, v1
	v_lshl_add_u32 v8, s2, 1, v54
	v_mov_b32_e32 v6, 0
	s_waitcnt lgkmcnt(0)
	v_cmp_lt_u64_e64 s[2:3], s[10:11], 2
	v_mov_b32_e32 v9, v6
	s_and_b64 vcc, exec, s[2:3]
	v_mov_b64_e32 v[36:37], 0
	s_cbranch_vccnz .LBB0_8
; %bb.1:
	s_load_dwordx2 s[2:3], s[0:1], 0x10
	s_add_u32 s16, s14, 8
	s_addc_u32 s17, s15, 0
	s_add_u32 s18, s12, 8
	s_addc_u32 s19, s13, 0
	s_waitcnt lgkmcnt(0)
	s_add_u32 s20, s2, 8
	v_mov_b64_e32 v[36:37], 0
	s_addc_u32 s21, s3, 0
	s_mov_b64 s[22:23], 1
	v_mov_b64_e32 v[2:3], v[36:37]
.LBB0_2:                                ; =>This Inner Loop Header: Depth=1
	s_load_dwordx2 s[24:25], s[20:21], 0x0
                                        ; implicit-def: $vgpr4_vgpr5
	s_waitcnt lgkmcnt(0)
	v_or_b32_e32 v7, s25, v9
	v_cmp_ne_u64_e32 vcc, 0, v[6:7]
	s_and_saveexec_b64 s[2:3], vcc
	s_xor_b64 s[26:27], exec, s[2:3]
	s_cbranch_execz .LBB0_4
; %bb.3:                                ;   in Loop: Header=BB0_2 Depth=1
	v_cvt_f32_u32_e32 v1, s24
	v_cvt_f32_u32_e32 v4, s25
	s_sub_u32 s2, 0, s24
	s_subb_u32 s3, 0, s25
	v_fmac_f32_e32 v1, 0x4f800000, v4
	v_rcp_f32_e32 v1, v1
	s_nop 0
	v_mul_f32_e32 v1, 0x5f7ffffc, v1
	v_mul_f32_e32 v4, 0x2f800000, v1
	v_trunc_f32_e32 v4, v4
	v_fmac_f32_e32 v1, 0xcf800000, v4
	v_cvt_u32_f32_e32 v7, v4
	v_cvt_u32_f32_e32 v1, v1
	v_mul_lo_u32 v4, s2, v7
	v_mul_hi_u32 v10, s2, v1
	v_mul_lo_u32 v5, s3, v1
	v_add_u32_e32 v10, v10, v4
	v_mul_lo_u32 v12, s2, v1
	v_add_u32_e32 v13, v10, v5
	v_mul_hi_u32 v4, v1, v12
	v_mul_hi_u32 v11, v1, v13
	v_mul_lo_u32 v10, v1, v13
	v_mov_b32_e32 v5, v6
	v_lshl_add_u64 v[4:5], v[4:5], 0, v[10:11]
	v_mul_hi_u32 v11, v7, v12
	v_mul_lo_u32 v12, v7, v12
	v_add_co_u32_e32 v4, vcc, v4, v12
	v_mul_hi_u32 v10, v7, v13
	s_nop 0
	v_addc_co_u32_e32 v4, vcc, v5, v11, vcc
	v_mov_b32_e32 v5, v6
	s_nop 0
	v_addc_co_u32_e32 v11, vcc, 0, v10, vcc
	v_mul_lo_u32 v10, v7, v13
	v_lshl_add_u64 v[4:5], v[4:5], 0, v[10:11]
	v_add_co_u32_e32 v1, vcc, v1, v4
	v_mul_lo_u32 v10, s2, v1
	s_nop 0
	v_addc_co_u32_e32 v7, vcc, v7, v5, vcc
	v_mul_lo_u32 v4, s2, v7
	v_mul_hi_u32 v5, s2, v1
	v_add_u32_e32 v4, v5, v4
	v_mul_lo_u32 v5, s3, v1
	v_add_u32_e32 v12, v4, v5
	v_mul_hi_u32 v14, v7, v10
	v_mul_lo_u32 v15, v7, v10
	v_mul_hi_u32 v5, v1, v12
	v_mul_lo_u32 v4, v1, v12
	v_mul_hi_u32 v10, v1, v10
	v_mov_b32_e32 v11, v6
	v_lshl_add_u64 v[4:5], v[10:11], 0, v[4:5]
	v_add_co_u32_e32 v4, vcc, v4, v15
	v_mul_hi_u32 v13, v7, v12
	s_nop 0
	v_addc_co_u32_e32 v4, vcc, v5, v14, vcc
	v_mul_lo_u32 v10, v7, v12
	s_nop 0
	v_addc_co_u32_e32 v11, vcc, 0, v13, vcc
	v_mov_b32_e32 v5, v6
	v_lshl_add_u64 v[4:5], v[4:5], 0, v[10:11]
	v_add_co_u32_e32 v1, vcc, v1, v4
	v_mul_hi_u32 v10, v8, v1
	s_nop 0
	v_addc_co_u32_e32 v7, vcc, v7, v5, vcc
	v_mad_u64_u32 v[4:5], s[2:3], v8, v7, 0
	v_mov_b32_e32 v11, v6
	v_lshl_add_u64 v[4:5], v[10:11], 0, v[4:5]
	v_mad_u64_u32 v[12:13], s[2:3], v9, v1, 0
	v_add_co_u32_e32 v1, vcc, v4, v12
	v_mad_u64_u32 v[10:11], s[2:3], v9, v7, 0
	s_nop 0
	v_addc_co_u32_e32 v4, vcc, v5, v13, vcc
	v_mov_b32_e32 v5, v6
	s_nop 0
	v_addc_co_u32_e32 v11, vcc, 0, v11, vcc
	v_lshl_add_u64 v[4:5], v[4:5], 0, v[10:11]
	v_mul_lo_u32 v1, s25, v4
	v_mul_lo_u32 v7, s24, v5
	v_mad_u64_u32 v[10:11], s[2:3], s24, v4, 0
	v_add3_u32 v1, v11, v7, v1
	v_sub_u32_e32 v7, v9, v1
	v_mov_b32_e32 v11, s25
	v_sub_co_u32_e32 v14, vcc, v8, v10
	v_lshl_add_u64 v[12:13], v[4:5], 0, 1
	s_nop 0
	v_subb_co_u32_e64 v7, s[2:3], v7, v11, vcc
	v_subrev_co_u32_e64 v10, s[2:3], s24, v14
	v_subb_co_u32_e32 v1, vcc, v9, v1, vcc
	s_nop 0
	v_subbrev_co_u32_e64 v7, s[2:3], 0, v7, s[2:3]
	v_cmp_le_u32_e64 s[2:3], s25, v7
	v_cmp_le_u32_e32 vcc, s25, v1
	s_nop 0
	v_cndmask_b32_e64 v11, 0, -1, s[2:3]
	v_cmp_le_u32_e64 s[2:3], s24, v10
	s_nop 1
	v_cndmask_b32_e64 v10, 0, -1, s[2:3]
	v_cmp_eq_u32_e64 s[2:3], s25, v7
	s_nop 1
	v_cndmask_b32_e64 v7, v11, v10, s[2:3]
	v_lshl_add_u64 v[10:11], v[4:5], 0, 2
	v_cmp_ne_u32_e64 s[2:3], 0, v7
	s_nop 1
	v_cndmask_b32_e64 v7, v13, v11, s[2:3]
	v_cndmask_b32_e64 v11, 0, -1, vcc
	v_cmp_le_u32_e32 vcc, s24, v14
	s_nop 1
	v_cndmask_b32_e64 v13, 0, -1, vcc
	v_cmp_eq_u32_e32 vcc, s25, v1
	s_nop 1
	v_cndmask_b32_e32 v1, v11, v13, vcc
	v_cmp_ne_u32_e32 vcc, 0, v1
	v_cndmask_b32_e64 v1, v12, v10, s[2:3]
	s_nop 0
	v_cndmask_b32_e32 v5, v5, v7, vcc
	v_cndmask_b32_e32 v4, v4, v1, vcc
.LBB0_4:                                ;   in Loop: Header=BB0_2 Depth=1
	s_andn2_saveexec_b64 s[2:3], s[26:27]
	s_cbranch_execz .LBB0_6
; %bb.5:                                ;   in Loop: Header=BB0_2 Depth=1
	v_cvt_f32_u32_e32 v1, s24
	s_sub_i32 s26, 0, s24
	v_rcp_iflag_f32_e32 v1, v1
	s_nop 0
	v_mul_f32_e32 v1, 0x4f7ffffe, v1
	v_cvt_u32_f32_e32 v1, v1
	v_mul_lo_u32 v4, s26, v1
	v_mul_hi_u32 v4, v1, v4
	v_add_u32_e32 v1, v1, v4
	v_mul_hi_u32 v1, v8, v1
	v_mul_lo_u32 v4, v1, s24
	v_sub_u32_e32 v4, v8, v4
	v_add_u32_e32 v5, 1, v1
	v_subrev_u32_e32 v7, s24, v4
	v_cmp_le_u32_e32 vcc, s24, v4
	s_nop 1
	v_cndmask_b32_e32 v4, v4, v7, vcc
	v_cndmask_b32_e32 v1, v1, v5, vcc
	v_add_u32_e32 v5, 1, v1
	v_cmp_le_u32_e32 vcc, s24, v4
	s_nop 1
	v_cndmask_b32_e32 v4, v1, v5, vcc
	v_mov_b32_e32 v5, v6
.LBB0_6:                                ;   in Loop: Header=BB0_2 Depth=1
	s_or_b64 exec, exec, s[2:3]
	v_mad_u64_u32 v[10:11], s[2:3], v4, s24, 0
	s_load_dwordx2 s[2:3], s[18:19], 0x0
	v_mul_lo_u32 v1, v5, s24
	v_mul_lo_u32 v7, v4, s25
	s_load_dwordx2 s[24:25], s[16:17], 0x0
	s_add_u32 s22, s22, 1
	v_add3_u32 v1, v11, v7, v1
	v_sub_co_u32_e32 v7, vcc, v8, v10
	s_addc_u32 s23, s23, 0
	s_nop 0
	v_subb_co_u32_e32 v1, vcc, v9, v1, vcc
	s_add_u32 s16, s16, 8
	s_waitcnt lgkmcnt(0)
	v_mul_lo_u32 v8, s2, v1
	v_mul_lo_u32 v9, s3, v7
	v_mad_u64_u32 v[36:37], s[2:3], s2, v7, v[36:37]
	s_addc_u32 s17, s17, 0
	v_add3_u32 v37, v9, v37, v8
	v_mul_lo_u32 v1, s24, v1
	v_mul_lo_u32 v8, s25, v7
	v_mad_u64_u32 v[2:3], s[2:3], s24, v7, v[2:3]
	s_add_u32 s18, s18, 8
	v_add3_u32 v3, v8, v3, v1
	s_addc_u32 s19, s19, 0
	v_mov_b64_e32 v[8:9], s[10:11]
	s_add_u32 s20, s20, 8
	v_cmp_ge_u64_e32 vcc, s[22:23], v[8:9]
	s_addc_u32 s21, s21, 0
	s_cbranch_vccnz .LBB0_9
; %bb.7:                                ;   in Loop: Header=BB0_2 Depth=1
	v_mov_b64_e32 v[8:9], v[4:5]
	s_branch .LBB0_2
.LBB0_8:
	v_mov_b64_e32 v[2:3], v[36:37]
	v_mov_b64_e32 v[4:5], v[8:9]
.LBB0_9:
	s_load_dwordx2 s[0:1], s[0:1], 0x28
	s_lshl_b64 s[10:11], s[10:11], 3
	s_add_u32 s2, s14, s10
	s_addc_u32 s3, s15, s11
                                        ; implicit-def: $sgpr14_sgpr15
                                        ; implicit-def: $vgpr8
	s_waitcnt lgkmcnt(0)
	v_cmp_gt_u64_e32 vcc, s[0:1], v[4:5]
	v_cmp_le_u64_e64 s[0:1], s[0:1], v[4:5]
	s_and_saveexec_b64 s[16:17], s[0:1]
	s_xor_b64 s[0:1], exec, s[16:17]
; %bb.10:
	s_mov_b32 s14, 0x9d89d8a
	v_mul_hi_u32 v1, v0, s14
	v_mul_u32_u24_e32 v1, 26, v1
	v_sub_u32_e32 v8, v0, v1
	s_mov_b64 s[14:15], 0
                                        ; implicit-def: $vgpr0
                                        ; implicit-def: $vgpr36_vgpr37
; %bb.11:
	s_or_saveexec_b64 s[0:1], s[0:1]
	v_mov_b64_e32 v[6:7], s[14:15]
	v_mov_b64_e32 v[10:11], s[14:15]
                                        ; implicit-def: $vgpr28
                                        ; implicit-def: $vgpr30
                                        ; implicit-def: $vgpr32
                                        ; implicit-def: $vgpr34
                                        ; implicit-def: $vgpr26
                                        ; implicit-def: $vgpr22
                                        ; implicit-def: $vgpr18
                                        ; implicit-def: $vgpr14
                                        ; implicit-def: $vgpr12
                                        ; implicit-def: $vgpr16
                                        ; implicit-def: $vgpr20
                                        ; implicit-def: $vgpr24
	s_xor_b64 exec, exec, s[0:1]
	s_cbranch_execz .LBB0_13
; %bb.12:
	s_add_u32 s10, s12, s10
	s_addc_u32 s11, s13, s11
	s_load_dwordx2 s[10:11], s[10:11], 0x0
	s_mov_b32 s12, 0x9d89d8a
	v_mov_b32_e32 v9, 0
	s_waitcnt lgkmcnt(0)
	v_mul_lo_u32 v1, s11, v4
	v_mul_lo_u32 v8, s10, v5
	v_mad_u64_u32 v[6:7], s[10:11], s10, v4, 0
	v_add3_u32 v7, v7, v8, v1
	v_mul_hi_u32 v1, v0, s12
	v_mul_u32_u24_e32 v1, 26, v1
	v_sub_u32_e32 v8, v0, v1
	v_lshl_add_u64 v[0:1], v[6:7], 3, s[4:5]
	v_lshl_add_u64 v[0:1], v[36:37], 3, v[0:1]
	v_lshlrev_b32_e32 v6, 3, v8
	v_mov_b32_e32 v7, v9
	v_lshl_add_u64 v[0:1], v[0:1], 0, v[6:7]
	global_load_dwordx2 v[10:11], v[0:1], off
	global_load_dwordx2 v[36:37], v[0:1], off offset:208
	global_load_dwordx2 v[32:33], v[0:1], off offset:416
	;; [unrolled: 1-line block ×12, first 2 shown]
	v_mov_b64_e32 v[6:7], v[8:9]
	s_waitcnt vmcnt(11)
	v_mov_b32_e32 v29, v37
	s_waitcnt vmcnt(8)
	v_mov_b32_e32 v28, v31
	v_mov_b32_e32 v31, v36
.LBB0_13:
	s_or_b64 exec, exec, s[0:1]
	v_add_f32_e32 v0, v31, v10
	v_add_f32_e32 v0, v32, v0
	s_mov_b32 s10, 0x3df6dbef
	v_add_f32_e32 v50, v34, v0
	s_waitcnt vmcnt(1)
	v_pk_add_f32 v[36:37], v[32:33], v[16:17] neg_lo:[0,1] neg_hi:[0,1]
	v_pk_add_f32 v[0:1], v[32:33], v[16:17]
	s_mov_b32 s11, 0x3f116cb1
	s_mov_b32 s14, 0xbf6f5d39
	v_mov_b32_e32 v38, v37
	v_mov_b32_e32 v39, v0
	s_mov_b32 s16, 0xbf52af12
	s_mov_b32 s17, s11
	;; [unrolled: 1-line block ×3, first 2 shown]
	s_waitcnt vmcnt(0)
	v_pk_add_f32 v[48:49], v[28:29], v[12:13] neg_lo:[0,1] neg_hi:[0,1]
	s_mov_b32 s15, 0xbe750f2a
	v_pk_mul_f32 v[46:47], v[38:39], s[16:17]
	s_mov_b32 s12, 0xbf3f9e67
	s_mov_b32 s18, 0x3f29c268
	;; [unrolled: 1-line block ×4, first 2 shown]
	v_mov_b32_e32 v51, v12
	s_mov_b32 s34, s14
	s_mov_b32 s35, s21
	v_mov_b32_e32 v9, v46
	s_mov_b32 s13, 0x3f62ad3f
	s_mov_b32 s19, 0x3eedf032
	;; [unrolled: 1-line block ×3, first 2 shown]
	v_pk_add_f32 v[50:51], v[30:31], v[50:51]
	v_pk_mul_f32 v[56:57], v[48:49], s[34:35] op_sel:[1,0]
	s_mov_b32 s36, s18
	s_mov_b32 s37, s24
	;; [unrolled: 1-line block ×4, first 2 shown]
	v_pk_fma_f32 v[52:53], v[38:39], s[16:17], v[8:9]
	v_pk_add_f32 v[40:41], v[34:35], v[14:15] neg_lo:[0,1] neg_hi:[0,1]
	s_mov_b32 s17, 0xbf7e222b
	v_mov_b32_e32 v42, v30
	v_mov_b32_e32 v43, v28
	s_mov_b32 s26, s12
	s_mov_b32 s27, s10
	v_pk_mul_f32 v[70:71], v[36:37], s[36:37] op_sel:[1,0]
	s_mov_b32 s38, s19
	s_mov_b32 s39, s16
	v_pk_fma_f32 v[60:61], v[50:51], s[42:43], v[56:57] op_sel:[1,0,0] neg_lo:[0,0,1] neg_hi:[0,0,1]
	v_pk_add_f32 v[38:39], v[34:35], v[14:15]
	v_pk_add_f32 v[44:45], v[42:43], v[20:21] neg_lo:[0,1] neg_hi:[0,1]
	s_mov_b32 s28, s13
	s_mov_b32 s29, s11
	v_pk_mul_f32 v[72:73], v[40:41], s[38:39] op_sel:[1,0]
	s_mov_b32 s41, 0x3e750f2a
	s_mov_b32 s40, s17
	v_pk_fma_f32 v[58:59], v[0:1], s[26:27], v[70:71] op_sel_hi:[0,1,1] neg_lo:[0,0,1] neg_hi:[0,0,1]
	v_pk_add_f32 v[60:61], v[60:61], v[10:11] op_sel_hi:[1,0]
	v_pk_add_f32 v[42:43], v[42:43], v[20:21]
	s_mov_b32 s30, s10
	s_mov_b32 s31, s23
	v_pk_add_f32 v[58:59], v[58:59], v[60:61]
	v_pk_fma_f32 v[60:61], v[38:39], s[28:29], v[72:73] op_sel_hi:[0,1,1] neg_lo:[0,0,1] neg_hi:[0,0,1]
	v_pk_mul_f32 v[74:75], v[44:45], s[40:41] op_sel:[1,0]
	v_pk_add_f32 v[58:59], v[60:61], v[58:59]
	v_pk_fma_f32 v[60:61], v[42:43], s[30:31], v[74:75] op_sel_hi:[0,1,1] neg_lo:[0,0,1] neg_hi:[0,0,1]
	s_mov_b32 s48, s41
	s_mov_b32 s49, s19
	v_pk_add_f32 v[64:65], v[26:27], v[18:19] neg_lo:[0,1] neg_hi:[0,1]
	v_pk_add_f32 v[60:61], v[60:61], v[58:59]
	s_mov_b32 s44, s23
	s_mov_b32 s45, s13
	v_pk_add_f32 v[58:59], v[26:27], v[18:19]
	v_pk_mul_f32 v[76:77], v[64:65], s[48:49] op_sel:[1,0]
	s_mov_b32 s50, 0x3f52af12
	v_pk_fma_f32 v[62:63], v[58:59], s[44:45], v[76:77] op_sel_hi:[0,1,1] neg_lo:[0,0,1] neg_hi:[0,0,1]
	v_pk_add_f32 v[66:67], v[62:63], v[60:61]
	s_mov_b32 s51, s14
	v_pk_add_f32 v[60:61], v[22:23], v[24:25] neg_lo:[0,1] neg_hi:[0,1]
	s_mov_b32 s46, s11
	s_mov_b32 s47, s22
	v_pk_add_f32 v[62:63], v[22:23], v[24:25]
	v_pk_mul_f32 v[78:79], v[60:61], s[50:51] op_sel:[1,0]
	v_and_b32_e32 v9, 1, v54
	v_pk_fma_f32 v[68:69], v[62:63], s[46:47], v[78:79] op_sel_hi:[0,1,1] neg_lo:[0,0,1] neg_hi:[0,0,1]
	v_mov_b32_e32 v30, 0x152
	v_cmp_eq_u32_e64 s[0:1], 1, v9
	v_pk_add_f32 v[66:67], v[68:69], v[66:67]
	v_mov_b32_e32 v54, v41
	v_cndmask_b32_e64 v68, 0, v30, s[0:1]
	v_mov_b32_e32 v55, v38
	s_mov_b32 s0, s17
	s_mov_b32 s1, s10
	v_lshl_add_u32 v34, v68, 2, 0
	v_pk_mul_f32 v[80:81], v[54:55], s[0:1]
	v_mad_u32_u24 v30, v8, 52, v34
	v_mov_b32_e32 v9, v80
	v_mov_b32_e32 v32, v67
	ds_write2_b32 v30, v67, v66 offset0:8 offset1:9
	v_pk_fma_f32 v[54:55], v[54:55], s[0:1], v[8:9]
	v_mov_b32_e32 v66, v45
	v_mov_b32_e32 v67, v42
	s_mov_b32 s0, s14
	s_mov_b32 s1, s22
	v_pk_mul_f32 v[82:83], v[66:67], s[0:1]
	v_pk_add_f32 v[94:95], v[26:27], v[50:51]
	v_mov_b32_e32 v9, v82
	v_pk_fma_f32 v[84:85], v[66:67], s[0:1], v[8:9]
	v_mov_b32_e32 v66, v65
	v_mov_b32_e32 v67, v58
	s_mov_b32 s0, s21
	s_mov_b32 s1, s12
	v_pk_mul_f32 v[86:87], v[66:67], s[0:1]
	v_mul_f32_e32 v99, 0xbeedf032, v49
	v_mov_b32_e32 v9, v86
	v_pk_fma_f32 v[88:89], v[66:67], s[0:1], v[8:9]
	v_mov_b32_e32 v66, v61
	v_mov_b32_e32 v67, v62
	s_mov_b32 s0, s15
	s_mov_b32 s1, s23
	v_pk_mul_f32 v[90:91], v[66:67], s[0:1]
	v_mov_b32_e32 v98, v22
	v_mov_b32_e32 v9, v90
	v_pk_fma_f32 v[92:93], v[66:67], s[0:1], v[8:9]
	v_mov_b32_e32 v67, 0x3f62ad3f
	v_mov_b32_e32 v66, v26
	v_pk_mul_f32 v[96:97], v[66:67], v[50:51]
	v_mov_b32_e32 v52, v18
	v_mov_b32_e32 v95, v97
	v_pk_add_f32 v[94:95], v[98:99], v[94:95]
	v_mov_b32_e32 v98, v24
	v_mov_b32_e32 v99, v10
	v_pk_add_f32 v[94:95], v[98:99], v[94:95]
	v_mov_b32_e32 v54, v20
	v_pk_add_f32 v[52:53], v[52:53], v[94:95]
	;; [unrolled: 2-line block ×5, first 2 shown]
	s_mov_b32 s52, s11
	v_pk_add_f32 v[52:53], v[92:93], v[52:53]
	ds_write2_b32 v30, v52, v53 offset1:1
	s_mov_b32 s53, s10
	v_pk_mul_f32 v[52:53], v[48:49], s[16:17] op_sel:[1,0]
	v_pk_mul_f32 v[84:85], v[36:37], s[14:15] op_sel:[1,0]
	v_pk_fma_f32 v[54:55], v[50:51], s[52:53], v[52:53] op_sel:[1,0,0]
	v_pk_fma_f32 v[88:89], v[0:1], s[22:23], v[84:85] op_sel_hi:[0,1,1]
	v_pk_add_f32 v[54:55], v[54:55], v[10:11] op_sel_hi:[1,0]
	s_mov_b32 s59, 0x3f6f5d39
	s_mov_b32 s58, s15
	v_pk_add_f32 v[54:55], v[88:89], v[54:55]
	s_mov_b32 s54, s23
	s_mov_b32 s55, s22
	v_pk_mul_f32 v[88:89], v[40:41], s[58:59] op_sel:[1,0]
	s_mov_b32 s25, s16
	v_pk_fma_f32 v[92:93], v[38:39], s[54:55], v[88:89] op_sel_hi:[0,1,1]
	v_pk_add_f32 v[54:55], v[92:93], v[54:55]
	v_pk_mul_f32 v[92:93], v[44:45], s[18:19] op_sel:[1,0]
	s_mov_b32 s20, s19
	v_pk_fma_f32 v[94:95], v[42:43], s[12:13], v[92:93] op_sel_hi:[0,1,1]
	v_pk_add_f32 v[54:55], v[94:95], v[54:55]
	;; [unrolled: 4-line block ×3, first 2 shown]
	s_mov_b32 s57, s12
	v_pk_mul_f32 v[98:99], v[60:61], s[20:21] op_sel:[1,0]
	v_pk_fma_f32 v[56:57], v[50:51], s[42:43], v[56:57] op_sel:[1,0,0]
	v_pk_fma_f32 v[100:101], v[62:63], s[56:57], v[98:99] op_sel_hi:[0,1,1]
	v_pk_add_f32 v[54:55], v[100:101], v[54:55]
	ds_write2_b32 v30, v54, v55 offset0:2 offset1:3
	v_pk_fma_f32 v[54:55], v[0:1], s[26:27], v[70:71] op_sel_hi:[0,1,1]
	v_pk_add_f32 v[56:57], v[56:57], v[10:11] op_sel_hi:[1,0]
	v_mul_f32_e32 v14, 0x3f62ad3f, v0
	v_pk_add_f32 v[54:55], v[54:55], v[56:57]
	v_pk_fma_f32 v[56:57], v[38:39], s[28:29], v[72:73] op_sel_hi:[0,1,1]
	v_pk_add_f32 v[54:55], v[56:57], v[54:55]
	v_pk_fma_f32 v[56:57], v[42:43], s[30:31], v[74:75] op_sel_hi:[0,1,1]
	;; [unrolled: 2-line block ×4, first 2 shown]
	v_pk_add_f32 v[54:55], v[56:57], v[54:55]
	v_mul_f32_e32 v16, 0x3eedf032, v37
	ds_write2_b32 v30, v54, v55 offset0:4 offset1:5
	v_pk_add_f32 v[54:55], v[14:15], v[16:17]
	v_pk_add_f32 v[56:57], v[14:15], v[16:17] neg_lo:[0,1] neg_hi:[0,1]
	v_mul_f32_e32 v14, 0xbf3f9e67, v38
	v_mul_f32_e32 v16, 0xbf29c268, v41
	v_mov_b32_e32 v55, v56
	v_pk_add_f32 v[56:57], v[14:15], v[16:17]
	v_pk_add_f32 v[70:71], v[14:15], v[16:17] neg_lo:[0,1] neg_hi:[0,1]
	v_mul_f32_e32 v14, 0x3f116cb1, v42
	v_mul_f32_e32 v16, 0x3f52af12, v45
	v_mov_b32_e32 v57, v70
	;; [unrolled: 5-line block ×5, first 2 shown]
	v_fmac_f32_e32 v97, 0x3eedf032, v49
	v_pk_add_f32 v[48:49], v[16:17], v[14:15]
	v_pk_add_f32 v[76:77], v[16:17], v[14:15] neg_lo:[0,1] neg_hi:[0,1]
	v_sub_f32_e32 v9, v47, v46
	v_mov_b32_e32 v49, v76
	v_pk_add_f32 v[48:49], v[48:49], v[10:11] op_sel_hi:[1,0]
	v_add_f32_e32 v22, v97, v10
	v_pk_add_f32 v[48:49], v[54:55], v[48:49]
	v_sub_f32_e32 v14, v81, v80
	v_pk_add_f32 v[48:49], v[56:57], v[48:49]
	v_add_f32_e32 v9, v9, v22
	v_pk_add_f32 v[48:49], v[70:71], v[48:49]
	v_sub_f32_e32 v16, v83, v82
	v_pk_add_f32 v[48:49], v[72:73], v[48:49]
	v_add_f32_e32 v9, v14, v9
	v_pk_add_f32 v[48:49], v[74:75], v[48:49]
	ds_write2_b32 v30, v48, v49 offset0:6 offset1:7
	v_pk_fma_f32 v[48:49], v[50:51], s[52:53], v[52:53] op_sel:[1,0,0] neg_lo:[0,0,1] neg_hi:[0,0,1]
	v_pk_fma_f32 v[50:51], v[0:1], s[22:23], v[84:85] op_sel_hi:[0,1,1] neg_lo:[0,0,1] neg_hi:[0,0,1]
	v_pk_add_f32 v[48:49], v[48:49], v[10:11] op_sel_hi:[1,0]
	v_sub_f32_e32 v18, v87, v86
	v_pk_add_f32 v[48:49], v[50:51], v[48:49]
	v_pk_fma_f32 v[50:51], v[38:39], s[54:55], v[88:89] op_sel_hi:[0,1,1] neg_lo:[0,0,1] neg_hi:[0,0,1]
	v_pk_add_f32 v[48:49], v[50:51], v[48:49]
	v_pk_fma_f32 v[50:51], v[42:43], s[12:13], v[92:93] op_sel_hi:[0,1,1] neg_lo:[0,0,1] neg_hi:[0,0,1]
	;; [unrolled: 2-line block ×3, first 2 shown]
	v_add_f32_e32 v9, v16, v9
	v_pk_add_f32 v[48:49], v[50:51], v[48:49]
	v_sub_f32_e32 v20, v91, v90
	v_add_f32_e32 v9, v18, v9
	v_pk_fma_f32 v[50:51], v[62:63], s[56:57], v[98:99] op_sel_hi:[0,1,1] neg_lo:[0,0,1] neg_hi:[0,0,1]
	s_movk_i32 s0, 0xffd0
	v_add_f32_e32 v46, v20, v9
	v_pk_add_f32 v[48:49], v[50:51], v[48:49]
	v_lshl_add_u32 v34, v8, 2, v34
	v_mad_i32_i24 v9, v8, s0, v30
	s_load_dwordx2 s[4:5], s[2:3], 0x0
	v_mov_b32_e32 v14, v49
	ds_write2_b32 v30, v49, v48 offset0:10 offset1:11
	ds_write_b32 v30, v46 offset:48
	s_waitcnt lgkmcnt(0)
	; wave barrier
	s_waitcnt lgkmcnt(0)
	ds_read2_b32 v[48:49], v9 offset0:130 offset1:169
	v_add_u32_e32 v16, 0x200, v9
	ds_read_b32 v70, v34
	ds_read_b32 v69, v9 offset:1196
	ds_read2_b32 v[54:55], v9 offset0:26 offset1:52
	ds_read2_b32 v[52:53], v9 offset0:195 offset1:221
	;; [unrolled: 1-line block ×4, first 2 shown]
	v_cmp_gt_u32_e64 s[0:1], 13, v8
	s_and_saveexec_b64 s[2:3], s[0:1]
	s_cbranch_execz .LBB0_15
; %bb.14:
	ds_read2_b32 v[46:47], v16 offset0:28 offset1:197
.LBB0_15:
	s_or_b64 exec, exec, s[2:3]
	v_add_f32_e32 v14, v29, v11
	v_mov_b32_e32 v76, v1
	v_mov_b32_e32 v77, v36
	s_mov_b32 s2, s11
	s_mov_b32 s3, s16
	v_add_f32_e32 v14, v33, v14
	v_pk_mul_f32 v[78:79], v[76:77], s[2:3]
	v_add_f32_e32 v32, v35, v14
	v_mov_b32_e32 v14, v31
	v_mov_b32_e32 v31, v78
	v_pk_add_f32 v[72:73], v[14:15], v[12:13] neg_lo:[0,1] neg_hi:[0,1]
	v_pk_fma_f32 v[76:77], v[76:77], s[2:3], v[30:31] neg_lo:[1,0,0] neg_hi:[1,0,0]
	v_add_f32_e32 v12, v78, v79
	v_mov_b32_e32 v78, v39
	v_mov_b32_e32 v79, v40
	s_mov_b32 s2, s10
	s_mov_b32 s3, s17
	v_pk_mul_f32 v[80:81], v[78:79], s[2:3]
	v_mov_b32_e32 v33, v13
	v_mov_b32_e32 v31, v80
	v_pk_fma_f32 v[78:79], v[78:79], s[2:3], v[30:31] neg_lo:[1,0,0] neg_hi:[1,0,0]
	v_add_f32_e32 v35, v80, v81
	v_mov_b32_e32 v80, v43
	v_mov_b32_e32 v81, v44
	s_mov_b32 s2, s22
	s_mov_b32 s3, s14
	v_pk_add_f32 v[28:29], v[28:29], v[32:33]
	v_mov_b32_e32 v66, v27
	v_mul_f32_e32 v75, 0xbeedf032, v72
	v_pk_mul_f32 v[82:83], v[80:81], s[2:3]
	v_pk_add_f32 v[32:33], v[66:67], v[28:29]
	v_mov_b32_e32 v74, v23
	v_mov_b32_e32 v31, v82
	v_pk_mul_f32 v[88:89], v[66:67], v[28:29]
	v_pk_add_f32 v[32:33], v[32:33], v[74:75]
	v_pk_fma_f32 v[66:67], v[66:67], v[28:29], v[74:75] neg_lo:[0,0,1] neg_hi:[0,0,1]
	v_pk_fma_f32 v[80:81], v[80:81], s[2:3], v[30:31] neg_lo:[1,0,0] neg_hi:[1,0,0]
	v_mov_b32_e32 v84, v59
	v_mov_b32_e32 v85, v64
	s_mov_b32 s2, s12
	s_mov_b32 s3, s21
	v_mov_b32_e32 v33, v67
	v_mov_b32_e32 v66, v25
	;; [unrolled: 1-line block ×3, first 2 shown]
	v_fmac_f32_e32 v89, 0xbeedf032, v72
	v_pk_mul_f32 v[86:87], v[84:85], s[2:3]
	v_pk_add_f32 v[32:33], v[66:67], v[32:33]
	v_mov_b32_e32 v76, v19
	v_mov_b32_e32 v80, v15
	v_add_f32_e32 v15, v89, v11
	v_mov_b32_e32 v31, v86
	v_pk_add_f32 v[32:33], v[76:77], v[32:33]
	v_mov_b32_e32 v78, v21
	v_add_f32_e32 v12, v12, v15
	v_add_f32_e32 v71, v82, v83
	v_pk_fma_f32 v[84:85], v[84:85], s[2:3], v[30:31] neg_lo:[1,0,0] neg_hi:[1,0,0]
	v_pk_add_f32 v[32:33], v[78:79], v[32:33]
	v_add_f32_e32 v12, v35, v12
	v_mov_b32_e32 v78, v63
	v_mov_b32_e32 v79, v60
	s_mov_b32 s2, s23
	s_mov_b32 s3, s15
	v_pk_add_f32 v[32:33], v[80:81], v[32:33]
	v_add_f32_e32 v12, v71, v12
	v_add_f32_e32 v15, v86, v87
	v_pk_mul_f32 v[80:81], v[78:79], s[2:3]
	v_mul_f32_e32 v14, 0xbe750f2a, v72
	v_add_f32_e32 v12, v15, v12
	v_mov_b32_e32 v15, v80
	v_mov_b32_e32 v84, v17
	v_pk_fma_f32 v[78:79], v[78:79], s[2:3], v[14:15] neg_lo:[1,0,0] neg_hi:[1,0,0]
	v_pk_add_f32 v[32:33], v[84:85], v[32:33]
	v_mov_b32_e32 v78, v13
	v_pk_add_f32 v[32:33], v[78:79], v[32:33]
	v_pk_mul_f32 v[78:79], v[72:73], s[16:17] op_sel_hi:[0,1]
	v_add_f32_e32 v13, v80, v81
	v_pk_mul_f32 v[80:81], v[36:37], s[14:15] op_sel_hi:[0,1]
	v_pk_fma_f32 v[94:95], v[28:29], s[52:53], v[78:79] op_sel:[1,0,0] neg_lo:[0,0,1] neg_hi:[0,0,1]
	v_pk_fma_f32 v[84:85], v[0:1], s[22:23], v[80:81] op_sel:[1,0,0] neg_lo:[0,0,1] neg_hi:[0,0,1]
	v_pk_mul_f32 v[86:87], v[40:41], s[58:59] op_sel_hi:[0,1]
	v_pk_add_f32 v[94:95], v[94:95], v[10:11] op_sel:[0,1]
	v_pk_fma_f32 v[78:79], v[28:29], s[52:53], v[78:79] op_sel:[1,0,0]
	v_pk_fma_f32 v[88:89], v[38:39], s[54:55], v[86:87] op_sel:[1,0,0] neg_lo:[0,0,1] neg_hi:[0,0,1]
	v_pk_mul_f32 v[90:91], v[44:45], s[18:19] op_sel_hi:[0,1]
	v_pk_add_f32 v[84:85], v[84:85], v[94:95]
	v_pk_fma_f32 v[80:81], v[0:1], s[22:23], v[80:81] op_sel:[1,0,0]
	v_pk_add_f32 v[78:79], v[78:79], v[10:11] op_sel:[0,1]
	v_pk_fma_f32 v[92:93], v[42:43], s[12:13], v[90:91] op_sel:[1,0,0] neg_lo:[0,0,1] neg_hi:[0,0,1]
	v_pk_add_f32 v[84:85], v[88:89], v[84:85]
	v_pk_mul_f32 v[88:89], v[64:65], s[24:25] op_sel_hi:[0,1]
	v_pk_fma_f32 v[86:87], v[38:39], s[54:55], v[86:87] op_sel:[1,0,0]
	v_pk_add_f32 v[78:79], v[80:81], v[78:79]
	v_pk_add_f32 v[84:85], v[92:93], v[84:85]
	v_pk_fma_f32 v[92:93], v[58:59], s[10:11], v[88:89] op_sel:[1,0,0] neg_lo:[0,0,1] neg_hi:[0,0,1]
	v_pk_fma_f32 v[90:91], v[42:43], s[12:13], v[90:91] op_sel:[1,0,0]
	v_pk_add_f32 v[78:79], v[86:87], v[78:79]
	v_pk_add_f32 v[84:85], v[92:93], v[84:85]
	v_pk_mul_f32 v[92:93], v[60:61], s[20:21] op_sel_hi:[0,1]
	v_pk_add_f32 v[78:79], v[90:91], v[78:79]
	v_pk_fma_f32 v[80:81], v[58:59], s[10:11], v[88:89] op_sel:[1,0,0]
	v_pk_mul_f32 v[72:73], v[72:73], s[34:35] op_sel_hi:[0,1]
	v_mul_f32_e32 v20, 0x3eedf032, v36
	v_mul_f32_e32 v66, 0xbf788fa5, v29
	v_pk_add_f32 v[78:79], v[80:81], v[78:79]
	v_pk_fma_f32 v[80:81], v[62:63], s[56:57], v[92:93] op_sel:[1,0,0]
	v_pk_mul_f32 v[36:37], v[36:37], s[36:37] op_sel_hi:[0,1]
	v_pk_fma_f32 v[90:91], v[28:29], s[42:43], v[72:73] op_sel:[1,0,0] neg_lo:[0,0,1] neg_hi:[0,0,1]
	v_pk_fma_f32 v[28:29], v[28:29], s[42:43], v[72:73] op_sel:[1,0,0]
	v_mul_f32_e32 v18, 0x3f62ad3f, v1
	v_mul_f32_e32 v24, 0xbf29c268, v40
	v_pk_add_f32 v[78:79], v[80:81], v[78:79]
	v_pk_fma_f32 v[80:81], v[0:1], s[26:27], v[36:37] op_sel:[1,0,0] neg_lo:[0,0,1] neg_hi:[0,0,1]
	v_pk_mul_f32 v[40:41], v[40:41], s[38:39] op_sel_hi:[0,1]
	v_pk_fma_f32 v[0:1], v[0:1], s[26:27], v[36:37] op_sel:[1,0,0]
	v_pk_add_f32 v[28:29], v[28:29], v[10:11] op_sel:[0,1]
	v_mul_f32_e32 v82, 0x3f52af12, v44
	v_pk_mul_f32 v[44:45], v[44:45], s[40:41] op_sel_hi:[0,1]
	v_pk_fma_f32 v[36:37], v[38:39], s[28:29], v[40:41] op_sel:[1,0,0]
	v_pk_add_f32 v[0:1], v[0:1], v[28:29]
	v_mul_f32_e32 v22, 0xbf3f9e67, v39
	v_pk_fma_f32 v[86:87], v[38:39], s[28:29], v[40:41] op_sel:[1,0,0] neg_lo:[0,0,1] neg_hi:[0,0,1]
	v_pk_fma_f32 v[38:39], v[42:43], s[30:31], v[44:45] op_sel:[1,0,0]
	v_pk_add_f32 v[0:1], v[36:37], v[0:1]
	v_mul_f32_e32 v26, 0x3f116cb1, v43
	v_pk_add_f32 v[0:1], v[38:39], v[0:1]
	v_pk_add_f32 v[38:39], v[18:19], v[20:21] neg_lo:[0,1] neg_hi:[0,1]
	v_pk_add_f32 v[18:19], v[18:19], v[20:21]
	v_pk_add_f32 v[20:21], v[22:23], v[24:25]
	v_mov_b32_e32 v39, v18
	v_pk_add_f32 v[18:19], v[22:23], v[24:25] neg_lo:[0,1] neg_hi:[0,1]
	v_pk_add_f32 v[90:91], v[90:91], v[10:11] op_sel:[0,1]
	v_mov_b32_e32 v19, v20
	v_pk_add_f32 v[20:21], v[26:27], v[82:83] neg_lo:[0,1] neg_hi:[0,1]
	v_pk_add_f32 v[22:23], v[26:27], v[82:83]
	v_pk_add_f32 v[80:81], v[80:81], v[90:91]
	v_mov_b32_e32 v21, v22
	v_pk_add_f32 v[22:23], v[66:67], v[14:15] neg_lo:[0,1] neg_hi:[0,1]
	v_pk_add_f32 v[14:15], v[66:67], v[14:15]
	v_mul_f32_e32 v76, 0xbf6f5d39, v64
	v_pk_fma_f32 v[88:89], v[42:43], s[30:31], v[44:45] op_sel:[1,0,0] neg_lo:[0,0,1] neg_hi:[0,0,1]
	v_pk_add_f32 v[80:81], v[86:87], v[80:81]
	v_pk_mul_f32 v[64:65], v[64:65], s[48:49] op_sel_hi:[0,1]
	v_mov_b32_e32 v23, v14
	v_pk_add_f32 v[80:81], v[88:89], v[80:81]
	v_pk_fma_f32 v[86:87], v[58:59], s[44:45], v[64:65] op_sel:[1,0,0] neg_lo:[0,0,1] neg_hi:[0,0,1]
	v_pk_add_f32 v[10:11], v[22:23], v[10:11] op_sel:[0,1]
	v_mul_f32_e32 v74, 0xbeb58ec6, v59
	v_pk_add_f32 v[80:81], v[86:87], v[80:81]
	v_pk_mul_f32 v[86:87], v[60:61], s[50:51] op_sel_hi:[0,1]
	v_pk_fma_f32 v[28:29], v[58:59], s[44:45], v[64:65] op_sel:[1,0,0]
	v_pk_add_f32 v[10:11], v[38:39], v[10:11]
	v_pk_add_f32 v[0:1], v[28:29], v[0:1]
	v_pk_fma_f32 v[28:29], v[62:63], s[46:47], v[86:87] op_sel:[1,0,0]
	v_pk_add_f32 v[10:11], v[18:19], v[10:11]
	v_pk_add_f32 v[14:15], v[74:75], v[76:77] neg_lo:[0,1] neg_hi:[0,1]
	v_pk_add_f32 v[18:19], v[74:75], v[76:77]
	v_pk_add_f32 v[0:1], v[28:29], v[0:1]
	v_mul_f32_e32 v28, 0x3df6dbef, v63
	v_mul_f32_e32 v36, 0x3f7e222b, v60
	v_pk_add_f32 v[10:11], v[20:21], v[10:11]
	v_mov_b32_e32 v15, v18
	v_pk_add_f32 v[10:11], v[14:15], v[10:11]
	v_pk_add_f32 v[14:15], v[28:29], v[36:37] neg_lo:[0,1] neg_hi:[0,1]
	v_pk_add_f32 v[18:19], v[28:29], v[36:37]
	v_pk_fma_f32 v[94:95], v[62:63], s[56:57], v[92:93] op_sel:[1,0,0] neg_lo:[0,0,1] neg_hi:[0,0,1]
	v_mov_b32_e32 v15, v18
	v_pk_fma_f32 v[88:89], v[62:63], s[46:47], v[86:87] op_sel:[1,0,0] neg_lo:[0,0,1] neg_hi:[0,0,1]
	v_pk_add_f32 v[10:11], v[14:15], v[10:11]
	v_add_f32_e32 v12, v13, v12
	v_pk_add_f32 v[84:85], v[94:95], v[84:85]
	v_pk_add_f32 v[80:81], v[88:89], v[80:81]
	s_waitcnt lgkmcnt(0)
	; wave barrier
	s_waitcnt lgkmcnt(0)
	ds_write2_b32 v30, v32, v33 offset1:1
	ds_write2_b32 v30, v84, v85 offset0:2 offset1:3
	ds_write2_b32 v30, v80, v81 offset0:4 offset1:5
	;; [unrolled: 1-line block ×5, first 2 shown]
	ds_write_b32 v30, v12 offset:48
	s_waitcnt lgkmcnt(0)
	; wave barrier
	s_waitcnt lgkmcnt(0)
	ds_read2_b32 v[0:1], v9 offset0:130 offset1:169
	ds_read2_b32 v[14:15], v9 offset0:26 offset1:52
	ds_read2_b32 v[18:19], v9 offset0:195 offset1:221
	ds_read2_b32 v[10:11], v9 offset0:78 offset1:104
	ds_read2_b32 v[16:17], v16 offset0:119 offset1:145
	ds_read_b32 v35, v34
	ds_read_b32 v36, v9 offset:1196
	s_and_saveexec_b64 s[2:3], s[0:1]
	s_cbranch_execz .LBB0_17
; %bb.16:
	v_add_u32_e32 v12, 0x200, v9
	ds_read2_b32 v[12:13], v12 offset0:28 offset1:197
.LBB0_17:
	s_or_b64 exec, exec, s[2:3]
	v_add_u32_e32 v20, -13, v8
	v_cndmask_b32_e64 v40, v20, v8, s[0:1]
	v_add_u16_e32 v20, 26, v8
	s_movk_i32 s2, 0x4f
	v_mov_b32_e32 v41, 0
	v_mul_lo_u16_sdwa v21, v20, s2 dst_sel:DWORD dst_unused:UNUSED_PAD src0_sel:BYTE_0 src1_sel:DWORD
	v_lshl_add_u64 v[26:27], v[40:41], 3, s[8:9]
	v_lshrrev_b16_e32 v41, 10, v21
	v_mul_lo_u16_e32 v21, 13, v41
	v_sub_u16_e32 v42, v20, v21
	v_add_u16_e32 v20, 52, v8
	v_mul_lo_u16_sdwa v21, v20, s2 dst_sel:DWORD dst_unused:UNUSED_PAD src0_sel:BYTE_0 src1_sel:DWORD
	v_lshrrev_b16_e32 v43, 10, v21
	v_mul_lo_u16_e32 v21, 13, v43
	v_sub_u16_e32 v44, v20, v21
	v_add_u16_e32 v20, 0x4e, v8
	v_mul_lo_u16_sdwa v21, v20, s2 dst_sel:DWORD dst_unused:UNUSED_PAD src0_sel:BYTE_0 src1_sel:DWORD
	v_lshrrev_b16_e32 v58, 10, v21
	v_mul_lo_u16_e32 v21, 13, v58
	v_mov_b32_e32 v38, 3
	v_sub_u16_e32 v59, v20, v21
	v_lshlrev_b32_sdwa v30, v38, v42 dst_sel:DWORD dst_unused:UNUSED_PAD src0_sel:DWORD src1_sel:BYTE_0
	v_lshlrev_b32_sdwa v31, v38, v44 dst_sel:DWORD dst_unused:UNUSED_PAD src0_sel:DWORD src1_sel:BYTE_0
	v_lshlrev_b32_sdwa v32, v38, v59 dst_sel:DWORD dst_unused:UNUSED_PAD src0_sel:DWORD src1_sel:BYTE_0
	global_load_dwordx2 v[28:29], v[26:27], off
	global_load_dwordx2 v[24:25], v30, s[8:9]
	global_load_dwordx2 v[22:23], v31, s[8:9]
	global_load_dwordx2 v[20:21], v32, s[8:9]
	v_add_u16_e32 v26, 0x68, v8
	v_mul_lo_u16_sdwa v27, v26, s2 dst_sel:DWORD dst_unused:UNUSED_PAD src0_sel:BYTE_0 src1_sel:DWORD
	v_lshrrev_b16_e32 v60, 10, v27
	v_mul_lo_u16_e32 v27, 13, v60
	v_sub_u16_e32 v61, v26, v27
	v_add_u16_e32 v27, 0x82, v8
	v_mul_lo_u16_sdwa v30, v27, s2 dst_sel:DWORD dst_unused:UNUSED_PAD src0_sel:BYTE_0 src1_sel:DWORD
	v_lshrrev_b16_e32 v62, 10, v30
	v_mul_lo_u16_e32 v30, 13, v62
	v_lshlrev_b32_sdwa v26, v38, v61 dst_sel:DWORD dst_unused:UNUSED_PAD src0_sel:DWORD src1_sel:BYTE_0
	v_sub_u16_e32 v63, v27, v30
	v_lshlrev_b32_sdwa v27, v38, v63 dst_sel:DWORD dst_unused:UNUSED_PAD src0_sel:DWORD src1_sel:BYTE_0
	global_load_dwordx2 v[32:33], v26, s[8:9]
	global_load_dwordx2 v[30:31], v27, s[8:9]
	v_add_u16_e32 v26, 0x9c, v8
	v_mul_lo_u16_sdwa v27, v26, s2 dst_sel:DWORD dst_unused:UNUSED_PAD src0_sel:BYTE_0 src1_sel:DWORD
	v_lshrrev_b16_e32 v27, 10, v27
	v_mul_lo_u16_e32 v27, 13, v27
	v_sub_u16_e32 v37, v26, v27
	v_lshlrev_b32_sdwa v26, v38, v37 dst_sel:DWORD dst_unused:UNUSED_PAD src0_sel:DWORD src1_sel:BYTE_0
	global_load_dwordx2 v[26:27], v26, s[8:9]
	v_mov_b32_e32 v39, 0x68
	v_cmp_lt_u32_e64 s[2:3], 12, v8
	s_movk_i32 s10, 0x68
	v_lshlrev_b32_e32 v38, 2, v68
	v_cndmask_b32_e64 v39, 0, v39, s[2:3]
	v_mov_b32_e32 v45, 2
	v_add_u32_e32 v39, 0, v39
	v_lshlrev_b32_e32 v40, 2, v40
	v_add3_u32 v39, v39, v40, v38
	v_mad_u32_u24 v40, v41, s10, 0
	v_lshlrev_b32_sdwa v42, v45, v42 dst_sel:DWORD dst_unused:UNUSED_PAD src0_sel:DWORD src1_sel:BYTE_0
	v_add3_u32 v40, v40, v42, v38
	v_mad_u32_u24 v41, v43, s10, 0
	v_lshlrev_b32_sdwa v43, v45, v44 dst_sel:DWORD dst_unused:UNUSED_PAD src0_sel:DWORD src1_sel:BYTE_0
	s_waitcnt lgkmcnt(0)
	; wave barrier
	s_waitcnt lgkmcnt(0)
	v_add3_u32 v41, v41, v43, v38
	v_lshlrev_b32_sdwa v43, v45, v59 dst_sel:DWORD dst_unused:UNUSED_PAD src0_sel:DWORD src1_sel:BYTE_0
	s_waitcnt vmcnt(6)
	v_mul_f32_e32 v42, v1, v29
	v_fmac_f32_e32 v42, v49, v28
	v_sub_f32_e32 v42, v70, v42
	s_waitcnt vmcnt(5)
	v_mul_f32_e32 v44, v18, v25
	s_waitcnt vmcnt(4)
	v_mul_f32_e32 v64, v19, v23
	v_fma_f32 v68, v70, 2.0, -v42
	v_fmac_f32_e32 v44, v52, v24
	v_fmac_f32_e32 v64, v53, v22
	ds_write2_b32 v39, v68, v42 offset1:13
	v_sub_f32_e32 v42, v54, v44
	v_sub_f32_e32 v44, v55, v64
	v_fma_f32 v54, v54, 2.0, -v42
	s_waitcnt vmcnt(3)
	v_mul_f32_e32 v65, v16, v21
	v_fma_f32 v55, v55, 2.0, -v44
	ds_write2_b32 v40, v54, v42 offset1:13
	s_waitcnt vmcnt(2)
	v_mul_f32_e32 v66, v17, v33
	s_waitcnt vmcnt(1)
	v_mul_f32_e32 v67, v36, v31
	v_mad_u32_u24 v42, v58, s10, 0
	v_fmac_f32_e32 v65, v50, v20
	v_fmac_f32_e32 v66, v51, v32
	;; [unrolled: 1-line block ×3, first 2 shown]
	ds_write2_b32 v41, v55, v44 offset1:13
	v_add3_u32 v42, v42, v43, v38
	v_mad_u32_u24 v43, v60, s10, 0
	v_lshlrev_b32_sdwa v44, v45, v61 dst_sel:DWORD dst_unused:UNUSED_PAD src0_sel:DWORD src1_sel:BYTE_0
	v_sub_f32_e32 v64, v56, v65
	v_sub_f32_e32 v65, v57, v66
	;; [unrolled: 1-line block ×3, first 2 shown]
	v_add3_u32 v43, v43, v44, v38
	v_mad_u32_u24 v44, v62, s10, 0
	v_lshlrev_b32_sdwa v54, v45, v63 dst_sel:DWORD dst_unused:UNUSED_PAD src0_sel:DWORD src1_sel:BYTE_0
	v_fma_f32 v56, v56, 2.0, -v64
	v_fma_f32 v57, v57, 2.0, -v65
	;; [unrolled: 1-line block ×3, first 2 shown]
	v_add3_u32 v44, v44, v54, v38
	ds_write2_b32 v42, v56, v64 offset1:13
	ds_write2_b32 v43, v57, v65 offset1:13
	;; [unrolled: 1-line block ×3, first 2 shown]
	s_and_saveexec_b64 s[2:3], s[0:1]
	s_cbranch_execz .LBB0_19
; %bb.18:
	s_waitcnt vmcnt(0)
	v_mul_f32_e32 v48, v13, v27
	v_lshlrev_b32_sdwa v45, v45, v37 dst_sel:DWORD dst_unused:UNUSED_PAD src0_sel:DWORD src1_sel:BYTE_0
	v_fmac_f32_e32 v48, v47, v26
	v_add3_u32 v45, 0, v45, v38
	v_sub_f32_e32 v48, v46, v48
	v_fma_f32 v46, v46, 2.0, -v48
	v_add_u32_e32 v45, 0x400, v45
	ds_write2_b32 v45, v46, v48 offset0:56 offset1:69
.LBB0_19:
	s_or_b64 exec, exec, s[2:3]
	v_mul_f32_e32 v21, v50, v21
	v_fma_f32 v16, v16, v20, -v21
	v_mul_f32_e32 v20, v51, v33
	v_fma_f32 v17, v17, v32, -v20
	;; [unrolled: 2-line block ×3, first 2 shown]
	v_mul_f32_e32 v29, v49, v29
	v_sub_f32_e32 v45, v0, v20
	v_fma_f32 v1, v1, v28, -v29
	v_mul_f32_e32 v25, v52, v25
	v_mul_f32_e32 v23, v53, v23
	v_fma_f32 v46, v0, 2.0, -v45
	v_lshlrev_b32_e32 v0, 2, v8
	v_fma_f32 v18, v18, v24, -v25
	v_fma_f32 v19, v19, v22, -v23
	v_sub_f32_e32 v1, v35, v1
	v_add3_u32 v21, 0, v0, v38
	v_fma_f32 v25, v35, 2.0, -v1
	v_sub_f32_e32 v28, v14, v18
	v_sub_f32_e32 v30, v15, v19
	;; [unrolled: 1-line block ×4, first 2 shown]
	v_add_u32_e32 v0, 0x400, v21
	v_fma_f32 v29, v14, 2.0, -v28
	v_fma_f32 v31, v15, 2.0, -v30
	;; [unrolled: 1-line block ×4, first 2 shown]
	s_waitcnt lgkmcnt(0)
	; wave barrier
	s_waitcnt lgkmcnt(0)
	ds_read2_b32 v[18:19], v9 offset0:26 offset1:52
	ds_read2_b32 v[10:11], v9 offset0:78 offset1:104
	;; [unrolled: 1-line block ×5, first 2 shown]
	ds_read_b32 v0, v34
	ds_read_b32 v20, v9 offset:520
	ds_read_b32 v24, v21 offset:1248
	s_waitcnt lgkmcnt(0)
	; wave barrier
	s_waitcnt lgkmcnt(0)
	ds_write2_b32 v39, v25, v1 offset1:13
	ds_write2_b32 v40, v29, v28 offset1:13
	;; [unrolled: 1-line block ×6, first 2 shown]
	s_and_saveexec_b64 s[2:3], s[0:1]
	s_cbranch_execz .LBB0_21
; %bb.20:
	s_waitcnt vmcnt(0)
	v_mul_f32_e32 v1, v47, v27
	v_fma_f32 v1, v13, v26, -v1
	v_mov_b32_e32 v13, 2
	v_lshlrev_b32_sdwa v13, v13, v37 dst_sel:DWORD dst_unused:UNUSED_PAD src0_sel:DWORD src1_sel:BYTE_0
	v_sub_f32_e32 v1, v12, v1
	v_add3_u32 v13, 0, v13, v38
	v_fma_f32 v12, v12, 2.0, -v1
	v_add_u32_e32 v13, 0x400, v13
	ds_write2_b32 v13, v12, v1 offset0:56 offset1:69
.LBB0_21:
	s_or_b64 exec, exec, s[2:3]
	s_waitcnt lgkmcnt(0)
	; wave barrier
	s_waitcnt lgkmcnt(0)
	s_and_saveexec_b64 s[0:1], vcc
	s_cbranch_execz .LBB0_23
; %bb.22:
	v_mul_u32_u24_e32 v1, 12, v8
	v_lshlrev_b32_e32 v1, 3, v1
	global_load_dwordx4 v[26:29], v1, s[8:9] offset:184
	global_load_dwordx4 v[30:33], v1, s[8:9] offset:168
	;; [unrolled: 1-line block ×6, first 2 shown]
	v_add_u32_e32 v59, 0x400, v21
	ds_read2_b32 v[12:13], v9 offset0:26 offset1:52
	ds_read_b32 v1, v34
	ds_read2_b32 v[34:35], v9 offset0:78 offset1:104
	ds_read2_b32 v[52:53], v21 offset0:208 offset1:234
	ds_read_b32 v8, v21 offset:1248
	ds_read_b32 v54, v9 offset:520
	ds_read2_b32 v[56:57], v21 offset0:156 offset1:182
	ds_read2_b32 v[76:77], v59 offset0:4 offset1:30
	v_mul_lo_u32 v25, s5, v4
	v_mul_lo_u32 v55, s4, v5
	v_mad_u64_u32 v[4:5], s[0:1], s4, v4, 0
	v_add3_u32 v5, v5, v55, v25
	v_lshl_add_u64 v[4:5], v[4:5], 3, s[6:7]
	v_mov_b32_e32 v66, v11
	v_lshl_add_u64 v[2:3], v[2:3], 3, v[4:5]
	s_waitcnt lgkmcnt(4)
	v_mov_b32_e32 v4, v53
	s_waitcnt lgkmcnt(1)
	v_mov_b32_e32 v80, v57
	s_waitcnt lgkmcnt(0)
	v_mov_b32_e32 v84, v77
	v_mov_b32_e32 v58, v23
	v_mov_b32_e32 v60, v23
	v_mov_b32_e32 v62, v17
	v_mov_b32_e32 v64, v17
	v_mov_b32_e32 v68, v15
	v_mov_b32_e32 v70, v15
	v_mov_b32_e32 v72, v19
	v_mov_b32_e32 v74, v19
	v_lshl_add_u64 v[2:3], v[6:7], 3, v[2:3]
	v_mov_b32_e32 v6, v35
	v_mov_b32_e32 v78, v35
	;; [unrolled: 1-line block ×3, first 2 shown]
	s_mov_b32 s0, 0xbeedf032
	s_mov_b32 s4, 0x3f62ad3f
	;; [unrolled: 1-line block ×14, first 2 shown]
	s_waitcnt vmcnt(5)
	v_pk_mul_f32 v[8:9], v[8:9], v[28:29] op_sel_hi:[0,1]
	v_pk_mul_f32 v[84:85], v[84:85], v[26:27] op_sel_hi:[0,1]
	s_waitcnt vmcnt(4)
	v_pk_mul_f32 v[76:77], v[76:77], v[32:33] op_sel_hi:[0,1]
	v_pk_mul_f32 v[4:5], v[4:5], v[30:31] op_sel_hi:[0,1]
	s_waitcnt vmcnt(3)
	v_mov_b32_e32 v86, v39
	v_mov_b32_e32 v87, v38
	v_pk_mul_f32 v[38:39], v[66:67], v[38:39] op_sel_hi:[0,1]
	s_waitcnt vmcnt(2)
	v_pk_mul_f32 v[52:53], v[52:53], v[42:43] op_sel_hi:[0,1]
	s_waitcnt vmcnt(1)
	v_pk_mul_f32 v[54:55], v[54:55], v[44:45] op_sel_hi:[0,1]
	v_pk_mul_f32 v[66:67], v[80:81], v[40:41] op_sel_hi:[0,1]
	;; [unrolled: 1-line block ×3, first 2 shown]
	s_waitcnt vmcnt(0)
	v_pk_mul_f32 v[18:19], v[18:19], v[48:49] op_sel_hi:[0,1]
	v_pk_mul_f32 v[80:81], v[82:83], v[50:51] op_sel_hi:[0,1]
	v_pk_fma_f32 v[82:83], v[24:25], v[28:29], v[8:9] op_sel:[0,0,1] op_sel_hi:[1,1,0]
	v_pk_fma_f32 v[8:9], v[24:25], v[28:29], v[8:9] op_sel:[0,0,1] op_sel_hi:[0,1,0] neg_lo:[1,0,0] neg_hi:[1,0,0]
	v_pk_fma_f32 v[28:29], v[58:59], v[26:27], v[84:85] op_sel:[0,0,1] op_sel_hi:[1,1,0]
	v_pk_fma_f32 v[24:25], v[60:61], v[26:27], v[84:85] op_sel:[0,0,1] op_sel_hi:[0,1,0] neg_lo:[1,0,0] neg_hi:[1,0,0]
	;; [unrolled: 2-line block ×4, first 2 shown]
	v_pk_fma_f32 v[30:31], v[6:7], v[86:87], v[38:39]
	v_pk_fma_f32 v[6:7], v[78:79], v[86:87], v[38:39] op_sel_hi:[0,1,1] neg_lo:[0,0,1] neg_hi:[0,0,1]
	v_pk_fma_f32 v[38:39], v[16:17], v[42:43], v[52:53] op_sel:[0,0,1] op_sel_hi:[1,1,0]
	v_pk_fma_f32 v[16:17], v[16:17], v[42:43], v[52:53] op_sel:[0,0,1] op_sel_hi:[0,1,0] neg_lo:[1,0,0] neg_hi:[1,0,0]
	v_pk_fma_f32 v[42:43], v[20:21], v[44:45], v[54:55] op_sel:[0,0,1] op_sel_hi:[1,1,0]
	v_pk_fma_f32 v[20:21], v[20:21], v[44:45], v[54:55] op_sel:[0,0,1] op_sel_hi:[0,1,0] neg_lo:[1,0,0] neg_hi:[1,0,0]
	;; [unrolled: 2-line block ×5, first 2 shown]
	v_mov_b32_e32 v83, v9
	v_mov_b32_e32 v47, v13
	v_pk_fma_f32 v[48:49], v[72:73], v[50:51], v[80:81] op_sel:[0,0,1] op_sel_hi:[1,1,0]
	v_pk_fma_f32 v[18:19], v[74:75], v[50:51], v[80:81] op_sel:[0,0,1] op_sel_hi:[0,1,0] neg_lo:[1,0,0] neg_hi:[1,0,0]
	v_mov_b32_e32 v33, v5
	v_pk_mul_f32 v[4:5], v[34:35], v[36:37] op_sel_hi:[0,1]
	v_pk_add_f32 v[54:55], v[46:47], v[82:83] neg_lo:[0,1] neg_hi:[0,1]
	v_mov_b32_e32 v29, v25
	v_mov_b32_e32 v31, v7
	v_mov_b32_e32 v49, v19
	v_pk_fma_f32 v[34:35], v[10:11], v[36:37], v[4:5] op_sel:[0,0,1] op_sel_hi:[1,1,0]
	v_pk_fma_f32 v[4:5], v[10:11], v[36:37], v[4:5] op_sel:[0,0,1] op_sel_hi:[0,1,0] neg_lo:[1,0,0] neg_hi:[1,0,0]
	v_pk_add_f32 v[52:53], v[46:47], v[82:83]
	v_pk_mul_f32 v[6:7], v[54:55], s[0:1] op_sel_hi:[1,0]
	v_mov_b32_e32 v35, v5
	v_pk_add_f32 v[36:37], v[0:1], v[46:47]
	v_pk_add_f32 v[60:61], v[48:49], v[28:29] neg_lo:[0,1] neg_hi:[0,1]
	v_pk_fma_f32 v[4:5], v[52:53], s[4:5], v[6:7] op_sel:[0,0,1] op_sel_hi:[1,0,0]
	v_pk_fma_f32 v[6:7], v[52:53], s[4:5], v[6:7] op_sel:[0,0,1] op_sel_hi:[1,0,0] neg_lo:[0,0,1] neg_hi:[0,0,1]
	v_mov_b32_e32 v59, v23
	v_pk_add_f32 v[56:57], v[48:49], v[28:29]
	v_pk_mul_f32 v[10:11], v[60:61], s[16:17] op_sel_hi:[1,0]
	v_mov_b32_e32 v8, v4
	v_mov_b32_e32 v9, v7
	v_pk_add_f32 v[36:37], v[36:37], v[48:49]
	v_pk_add_f32 v[62:63], v[34:35], v[58:59]
	v_pk_add_f32 v[64:65], v[34:35], v[58:59] neg_lo:[0,1] neg_hi:[0,1]
	v_pk_add_f32 v[12:13], v[0:1], v[8:9]
	v_pk_fma_f32 v[8:9], v[56:57], s[2:3], v[10:11] op_sel:[0,0,1] op_sel_hi:[1,0,0]
	v_pk_fma_f32 v[10:11], v[56:57], s[2:3], v[10:11] op_sel:[0,0,1] op_sel_hi:[1,0,0] neg_lo:[0,0,1] neg_hi:[0,0,1]
	v_pk_add_f32 v[34:35], v[36:37], v[34:35]
	v_mov_b32_e32 v39, v17
	v_mov_b32_e32 v43, v21
	;; [unrolled: 1-line block ×3, first 2 shown]
	s_mov_b32 s0, 0x3df6dbef
	v_pk_mul_f32 v[14:15], v[64:65], s[22:23] op_sel_hi:[1,0]
	v_pk_add_f32 v[66:67], v[30:31], v[32:33]
	v_pk_add_f32 v[68:69], v[30:31], v[32:33] neg_lo:[0,1] neg_hi:[0,1]
	v_mov_b32_e32 v16, v8
	v_mov_b32_e32 v17, v11
	v_pk_add_f32 v[30:31], v[34:35], v[30:31]
	v_pk_add_f32 v[16:17], v[12:13], v[16:17]
	v_pk_fma_f32 v[12:13], v[62:63], s[0:1], v[14:15] op_sel:[0,0,1] op_sel_hi:[1,0,0]
	v_pk_fma_f32 v[14:15], v[62:63], s[0:1], v[14:15] op_sel:[0,0,1] op_sel_hi:[1,0,0] neg_lo:[0,0,1] neg_hi:[0,0,1]
	v_pk_add_f32 v[30:31], v[30:31], v[42:43]
	v_mov_b32_e32 v45, v27
	v_pk_mul_f32 v[18:19], v[68:69], s[8:9] op_sel_hi:[1,0]
	v_mov_b32_e32 v20, v12
	v_mov_b32_e32 v21, v15
	v_pk_add_f32 v[30:31], v[30:31], v[40:41]
	v_pk_add_f32 v[72:73], v[42:43], v[38:39] neg_lo:[0,1] neg_hi:[0,1]
	v_pk_add_f32 v[20:21], v[16:17], v[20:21]
	v_pk_fma_f32 v[16:17], v[66:67], s[6:7], v[18:19] op_sel:[0,0,1] op_sel_hi:[1,0,0]
	v_pk_fma_f32 v[18:19], v[66:67], s[6:7], v[18:19] op_sel:[0,0,1] op_sel_hi:[1,0,0] neg_lo:[0,0,1] neg_hi:[0,0,1]
	v_pk_add_f32 v[30:31], v[30:31], v[44:45]
	v_pk_add_f32 v[70:71], v[42:43], v[38:39]
	v_pk_mul_f32 v[22:23], v[72:73], s[12:13] op_sel_hi:[1,0]
	v_mov_b32_e32 v24, v16
	v_mov_b32_e32 v25, v19
	v_pk_add_f32 v[30:31], v[38:39], v[30:31]
	v_pk_add_f32 v[76:77], v[40:41], v[44:45] neg_lo:[0,1] neg_hi:[0,1]
	v_pk_add_f32 v[24:25], v[20:21], v[24:25]
	v_pk_fma_f32 v[20:21], v[70:71], s[10:11], v[22:23] op_sel:[0,0,1] op_sel_hi:[1,0,0]
	v_pk_fma_f32 v[22:23], v[70:71], s[10:11], v[22:23] op_sel:[0,0,1] op_sel_hi:[1,0,0] neg_lo:[0,0,1] neg_hi:[0,0,1]
	v_pk_add_f32 v[30:31], v[32:33], v[30:31]
	v_pk_add_f32 v[74:75], v[40:41], v[44:45]
	v_pk_mul_f32 v[26:27], v[76:77], s[18:19] op_sel_hi:[1,0]
	v_mov_b32_e32 v46, v20
	v_mov_b32_e32 v47, v23
	v_pk_add_f32 v[30:31], v[58:59], v[30:31]
	v_pk_add_f32 v[46:47], v[24:25], v[46:47]
	v_pk_fma_f32 v[24:25], v[74:75], s[14:15], v[26:27] op_sel:[0,0,1] op_sel_hi:[1,0,0]
	v_pk_fma_f32 v[26:27], v[74:75], s[14:15], v[26:27] op_sel:[0,0,1] op_sel_hi:[1,0,0] neg_lo:[0,0,1] neg_hi:[0,0,1]
	v_pk_add_f32 v[28:29], v[28:29], v[30:31]
	v_mov_b32_e32 v50, v24
	v_mov_b32_e32 v51, v27
	v_pk_add_f32 v[28:29], v[82:83], v[28:29]
	v_pk_mul_f32 v[30:31], v[54:55], s[16:17] op_sel_hi:[1,0]
	v_pk_add_f32 v[46:47], v[46:47], v[50:51]
	global_store_dwordx2 v[2:3], v[28:29], off
	global_store_dwordx2 v[2:3], v[46:47], off offset:208
	v_pk_fma_f32 v[28:29], v[52:53], s[2:3], v[30:31] op_sel:[0,0,1] op_sel_hi:[1,0,0]
	v_pk_fma_f32 v[30:31], v[52:53], s[2:3], v[30:31] op_sel:[0,0,1] op_sel_hi:[1,0,0] neg_lo:[0,0,1] neg_hi:[0,0,1]
	v_mov_b32_e32 v32, v28
	v_mov_b32_e32 v33, v31
	v_pk_mul_f32 v[34:35], v[60:61], s[8:9] op_sel_hi:[1,0]
	v_pk_add_f32 v[36:37], v[0:1], v[32:33]
	v_pk_fma_f32 v[32:33], v[56:57], s[6:7], v[34:35] op_sel:[0,0,1] op_sel_hi:[1,0,0]
	v_pk_fma_f32 v[34:35], v[56:57], s[6:7], v[34:35] op_sel:[0,0,1] op_sel_hi:[1,0,0] neg_lo:[0,0,1] neg_hi:[0,0,1]
	v_mov_b32_e32 v38, v32
	v_mov_b32_e32 v39, v35
	v_pk_add_f32 v[40:41], v[36:37], v[38:39]
	v_pk_mul_f32 v[38:39], v[64:65], s[18:19] op_sel_hi:[1,0]
	v_pk_mul_f32 v[80:81], v[64:65], s[28:29] op_sel_hi:[1,0]
	v_pk_fma_f32 v[36:37], v[62:63], s[14:15], v[38:39] op_sel:[0,0,1] op_sel_hi:[1,0,0]
	v_pk_fma_f32 v[38:39], v[62:63], s[14:15], v[38:39] op_sel:[0,0,1] op_sel_hi:[1,0,0] neg_lo:[0,0,1] neg_hi:[0,0,1]
	v_mov_b32_e32 v42, v36
	v_mov_b32_e32 v43, v39
	v_pk_add_f32 v[44:45], v[40:41], v[42:43]
	v_pk_mul_f32 v[42:43], v[68:69], s[26:27] op_sel_hi:[1,0]
	v_pk_mul_f32 v[106:107], v[60:61], s[26:27] op_sel_hi:[1,0]
	v_pk_fma_f32 v[40:41], v[66:67], s[10:11], v[42:43] op_sel:[0,0,1] op_sel_hi:[1,0,0]
	v_pk_fma_f32 v[42:43], v[66:67], s[10:11], v[42:43] op_sel:[0,0,1] op_sel_hi:[1,0,0] neg_lo:[0,0,1] neg_hi:[0,0,1]
	v_mov_b32_e32 v46, v40
	v_mov_b32_e32 v47, v43
	v_pk_add_f32 v[48:49], v[44:45], v[46:47]
	v_pk_mul_f32 v[46:47], v[72:73], s[20:21] op_sel_hi:[1,0]
	v_pk_fma_f32 v[108:109], v[56:57], s[10:11], v[106:107] op_sel:[0,0,1] op_sel_hi:[1,0,0]
	v_pk_fma_f32 v[44:45], v[70:71], s[0:1], v[46:47] op_sel:[0,0,1] op_sel_hi:[1,0,0]
	v_pk_fma_f32 v[46:47], v[70:71], s[0:1], v[46:47] op_sel:[0,0,1] op_sel_hi:[1,0,0] neg_lo:[0,0,1] neg_hi:[0,0,1]
	v_mov_b32_e32 v50, v44
	v_mov_b32_e32 v51, v47
	v_pk_add_f32 v[58:59], v[48:49], v[50:51]
	v_pk_mul_f32 v[50:51], v[76:77], s[24:25] op_sel_hi:[1,0]
	v_pk_fma_f32 v[106:107], v[56:57], s[10:11], v[106:107] op_sel:[0,0,1] op_sel_hi:[1,0,0] neg_lo:[0,0,1] neg_hi:[0,0,1]
	v_pk_fma_f32 v[48:49], v[74:75], s[4:5], v[50:51] op_sel:[0,0,1] op_sel_hi:[1,0,0]
	v_pk_fma_f32 v[50:51], v[74:75], s[4:5], v[50:51] op_sel:[0,0,1] op_sel_hi:[1,0,0] neg_lo:[0,0,1] neg_hi:[0,0,1]
	v_mov_b32_e32 v78, v48
	v_mov_b32_e32 v79, v51
	v_pk_add_f32 v[58:59], v[58:59], v[78:79]
	global_store_dwordx2 v[2:3], v[58:59], off offset:416
	v_pk_mul_f32 v[58:59], v[54:55], s[22:23] op_sel_hi:[1,0]
	v_pk_mul_f32 v[78:79], v[60:61], s[18:19] op_sel_hi:[1,0]
	v_pk_fma_f32 v[82:83], v[52:53], s[0:1], v[58:59] op_sel:[0,0,1] op_sel_hi:[1,0,0]
	v_pk_fma_f32 v[58:59], v[52:53], s[0:1], v[58:59] op_sel:[0,0,1] op_sel_hi:[1,0,0] neg_lo:[0,0,1] neg_hi:[0,0,1]
	v_mov_b32_e32 v84, v82
	v_mov_b32_e32 v85, v59
	v_pk_fma_f32 v[86:87], v[56:57], s[14:15], v[78:79] op_sel:[0,0,1] op_sel_hi:[1,0,0]
	v_pk_fma_f32 v[78:79], v[56:57], s[14:15], v[78:79] op_sel:[0,0,1] op_sel_hi:[1,0,0] neg_lo:[0,0,1] neg_hi:[0,0,1]
	v_pk_add_f32 v[84:85], v[0:1], v[84:85]
	v_mov_b32_e32 v88, v86
	v_mov_b32_e32 v89, v79
	v_pk_add_f32 v[84:85], v[84:85], v[88:89]
	v_pk_fma_f32 v[88:89], v[62:63], s[6:7], v[80:81] op_sel:[0,0,1] op_sel_hi:[1,0,0]
	v_pk_fma_f32 v[80:81], v[62:63], s[6:7], v[80:81] op_sel:[0,0,1] op_sel_hi:[1,0,0] neg_lo:[0,0,1] neg_hi:[0,0,1]
	v_mov_b32_e32 v90, v88
	v_mov_b32_e32 v91, v81
	v_pk_add_f32 v[84:85], v[84:85], v[90:91]
	v_pk_mul_f32 v[90:91], v[68:69], s[24:25] op_sel_hi:[1,0]
	v_mov_b32_e32 v110, v108
	v_pk_fma_f32 v[92:93], v[66:67], s[4:5], v[90:91] op_sel:[0,0,1] op_sel_hi:[1,0,0]
	v_pk_fma_f32 v[90:91], v[66:67], s[4:5], v[90:91] op_sel:[0,0,1] op_sel_hi:[1,0,0] neg_lo:[0,0,1] neg_hi:[0,0,1]
	v_mov_b32_e32 v94, v92
	v_mov_b32_e32 v95, v91
	v_pk_add_f32 v[84:85], v[84:85], v[94:95]
	v_pk_mul_f32 v[94:95], v[72:73], s[16:17] op_sel_hi:[1,0]
	v_mov_b32_e32 v111, v107
	v_pk_fma_f32 v[96:97], v[70:71], s[2:3], v[94:95] op_sel:[0,0,1] op_sel_hi:[1,0,0]
	v_pk_fma_f32 v[94:95], v[70:71], s[2:3], v[94:95] op_sel:[0,0,1] op_sel_hi:[1,0,0] neg_lo:[0,0,1] neg_hi:[0,0,1]
	v_mov_b32_e32 v98, v96
	v_mov_b32_e32 v99, v95
	v_pk_add_f32 v[84:85], v[84:85], v[98:99]
	v_pk_mul_f32 v[98:99], v[76:77], s[12:13] op_sel_hi:[1,0]
	s_mov_b32 s26, 0x3f52af12
	v_pk_fma_f32 v[100:101], v[74:75], s[10:11], v[98:99] op_sel:[0,0,1] op_sel_hi:[1,0,0]
	v_pk_fma_f32 v[98:99], v[74:75], s[10:11], v[98:99] op_sel:[0,0,1] op_sel_hi:[1,0,0] neg_lo:[0,0,1] neg_hi:[0,0,1]
	v_mov_b32_e32 v102, v100
	v_mov_b32_e32 v103, v99
	v_pk_add_f32 v[84:85], v[84:85], v[102:103]
	global_store_dwordx2 v[2:3], v[84:85], off offset:624
	v_pk_mul_f32 v[84:85], v[54:55], s[8:9] op_sel_hi:[1,0]
	v_pk_mul_f32 v[130:131], v[60:61], s[20:21] op_sel_hi:[1,0]
	v_pk_fma_f32 v[102:103], v[52:53], s[6:7], v[84:85] op_sel:[0,0,1] op_sel_hi:[1,0,0]
	v_pk_fma_f32 v[84:85], v[52:53], s[6:7], v[84:85] op_sel:[0,0,1] op_sel_hi:[1,0,0] neg_lo:[0,0,1] neg_hi:[0,0,1]
	v_mov_b32_e32 v104, v102
	v_mov_b32_e32 v105, v85
	v_pk_add_f32 v[104:105], v[0:1], v[104:105]
	v_pk_fma_f32 v[132:133], v[56:57], s[0:1], v[130:131] op_sel:[0,0,1] op_sel_hi:[1,0,0]
	v_pk_add_f32 v[104:105], v[104:105], v[110:111]
	v_pk_mul_f32 v[110:111], v[64:65], s[24:25] op_sel_hi:[1,0]
	v_pk_fma_f32 v[130:131], v[56:57], s[0:1], v[130:131] op_sel:[0,0,1] op_sel_hi:[1,0,0] neg_lo:[0,0,1] neg_hi:[0,0,1]
	v_pk_fma_f32 v[112:113], v[62:63], s[4:5], v[110:111] op_sel:[0,0,1] op_sel_hi:[1,0,0]
	v_pk_fma_f32 v[110:111], v[62:63], s[4:5], v[110:111] op_sel:[0,0,1] op_sel_hi:[1,0,0] neg_lo:[0,0,1] neg_hi:[0,0,1]
	v_mov_b32_e32 v114, v112
	v_mov_b32_e32 v115, v111
	v_pk_add_f32 v[104:105], v[104:105], v[114:115]
	v_pk_mul_f32 v[114:115], v[68:69], s[22:23] op_sel_hi:[1,0]
	s_mov_b32 s22, 0x3e750f2a
	v_pk_fma_f32 v[116:117], v[66:67], s[0:1], v[114:115] op_sel:[0,0,1] op_sel_hi:[1,0,0]
	v_pk_fma_f32 v[114:115], v[66:67], s[0:1], v[114:115] op_sel:[0,0,1] op_sel_hi:[1,0,0] neg_lo:[0,0,1] neg_hi:[0,0,1]
	v_mov_b32_e32 v118, v116
	v_mov_b32_e32 v119, v115
	v_pk_add_f32 v[104:105], v[104:105], v[118:119]
	v_pk_mul_f32 v[118:119], v[72:73], s[22:23] op_sel_hi:[1,0]
	v_mov_b32_e32 v134, v132
	v_pk_fma_f32 v[120:121], v[70:71], s[14:15], v[118:119] op_sel:[0,0,1] op_sel_hi:[1,0,0]
	v_pk_fma_f32 v[118:119], v[70:71], s[14:15], v[118:119] op_sel:[0,0,1] op_sel_hi:[1,0,0] neg_lo:[0,0,1] neg_hi:[0,0,1]
	v_mov_b32_e32 v122, v120
	v_mov_b32_e32 v123, v119
	v_pk_add_f32 v[104:105], v[104:105], v[122:123]
	v_pk_mul_f32 v[122:123], v[76:77], s[26:27] op_sel_hi:[1,0]
	v_mov_b32_e32 v135, v131
	v_pk_fma_f32 v[124:125], v[74:75], s[2:3], v[122:123] op_sel:[0,0,1] op_sel_hi:[1,0,0]
	v_pk_fma_f32 v[122:123], v[74:75], s[2:3], v[122:123] op_sel:[0,0,1] op_sel_hi:[1,0,0] neg_lo:[0,0,1] neg_hi:[0,0,1]
	v_mov_b32_e32 v126, v124
	v_mov_b32_e32 v127, v123
	v_pk_add_f32 v[104:105], v[104:105], v[126:127]
	global_store_dwordx2 v[2:3], v[104:105], off offset:832
	v_pk_mul_f32 v[104:105], v[54:55], s[12:13] op_sel_hi:[1,0]
	v_pk_mul_f32 v[54:55], v[54:55], s[18:19] op_sel_hi:[1,0]
	v_pk_fma_f32 v[126:127], v[52:53], s[10:11], v[104:105] op_sel:[0,0,1] op_sel_hi:[1,0,0]
	v_pk_fma_f32 v[104:105], v[52:53], s[10:11], v[104:105] op_sel:[0,0,1] op_sel_hi:[1,0,0] neg_lo:[0,0,1] neg_hi:[0,0,1]
	v_mov_b32_e32 v128, v126
	v_mov_b32_e32 v129, v105
	v_pk_add_f32 v[128:129], v[0:1], v[128:129]
	v_mov_b32_e32 v105, v127
	v_pk_add_f32 v[128:129], v[128:129], v[134:135]
	v_pk_mul_f32 v[134:135], v[64:65], s[16:17] op_sel_hi:[1,0]
	v_pk_mul_f32 v[64:65], v[64:65], s[12:13] op_sel_hi:[1,0]
	v_pk_fma_f32 v[136:137], v[62:63], s[2:3], v[134:135] op_sel:[0,0,1] op_sel_hi:[1,0,0]
	v_pk_fma_f32 v[134:135], v[62:63], s[2:3], v[134:135] op_sel:[0,0,1] op_sel_hi:[1,0,0] neg_lo:[0,0,1] neg_hi:[0,0,1]
	v_mov_b32_e32 v138, v136
	v_mov_b32_e32 v139, v135
	v_pk_add_f32 v[128:129], v[128:129], v[138:139]
	v_pk_mul_f32 v[138:139], v[68:69], s[22:23] op_sel_hi:[1,0]
	v_mov_b32_e32 v131, v133
	v_pk_fma_f32 v[140:141], v[66:67], s[14:15], v[138:139] op_sel:[0,0,1] op_sel_hi:[1,0,0]
	v_pk_fma_f32 v[138:139], v[66:67], s[14:15], v[138:139] op_sel:[0,0,1] op_sel_hi:[1,0,0] neg_lo:[0,0,1] neg_hi:[0,0,1]
	v_mov_b32_e32 v142, v140
	v_mov_b32_e32 v143, v139
	v_pk_add_f32 v[128:129], v[128:129], v[142:143]
	v_pk_mul_f32 v[142:143], v[72:73], s[24:25] op_sel_hi:[1,0]
	v_mov_b32_e32 v135, v137
	;; [unrolled: 7-line block ×3, first 2 shown]
	v_pk_fma_f32 v[148:149], v[74:75], s[6:7], v[146:147] op_sel:[0,0,1] op_sel_hi:[1,0,0]
	v_pk_fma_f32 v[146:147], v[74:75], s[6:7], v[146:147] op_sel:[0,0,1] op_sel_hi:[1,0,0] neg_lo:[0,0,1] neg_hi:[0,0,1]
	v_mov_b32_e32 v150, v148
	v_mov_b32_e32 v151, v147
	v_pk_add_f32 v[128:129], v[128:129], v[150:151]
	global_store_dwordx2 v[2:3], v[128:129], off offset:1040
	v_pk_fma_f32 v[128:129], v[52:53], s[14:15], v[54:55] op_sel:[0,0,1] op_sel_hi:[1,0,0]
	v_pk_fma_f32 v[52:53], v[52:53], s[14:15], v[54:55] op_sel:[0,0,1] op_sel_hi:[1,0,0] neg_lo:[0,0,1] neg_hi:[0,0,1]
	v_pk_mul_f32 v[54:55], v[60:61], s[24:25] op_sel_hi:[1,0]
	v_mov_b32_e32 v143, v145
	v_pk_fma_f32 v[60:61], v[56:57], s[4:5], v[54:55] op_sel:[0,0,1] op_sel_hi:[1,0,0]
	v_pk_fma_f32 v[54:55], v[56:57], s[4:5], v[54:55] op_sel:[0,0,1] op_sel_hi:[1,0,0] neg_lo:[0,0,1] neg_hi:[0,0,1]
	v_mov_b32_e32 v56, v128
	v_mov_b32_e32 v57, v53
	v_pk_add_f32 v[56:57], v[0:1], v[56:57]
	v_mov_b32_e32 v150, v60
	v_mov_b32_e32 v151, v55
	v_pk_add_f32 v[56:57], v[56:57], v[150:151]
	v_pk_fma_f32 v[150:151], v[62:63], s[10:11], v[64:65] op_sel:[0,0,1] op_sel_hi:[1,0,0]
	v_pk_fma_f32 v[62:63], v[62:63], s[10:11], v[64:65] op_sel:[0,0,1] op_sel_hi:[1,0,0] neg_lo:[0,0,1] neg_hi:[0,0,1]
	v_mov_b32_e32 v64, v150
	v_mov_b32_e32 v65, v63
	v_pk_add_f32 v[56:57], v[56:57], v[64:65]
	v_pk_mul_f32 v[64:65], v[68:69], s[26:27] op_sel_hi:[1,0]
	v_mov_b32_e32 v53, v129
	v_pk_fma_f32 v[68:69], v[66:67], s[2:3], v[64:65] op_sel:[0,0,1] op_sel_hi:[1,0,0]
	v_pk_fma_f32 v[64:65], v[66:67], s[2:3], v[64:65] op_sel:[0,0,1] op_sel_hi:[1,0,0] neg_lo:[0,0,1] neg_hi:[0,0,1]
	v_mov_b32_e32 v66, v68
	v_mov_b32_e32 v67, v65
	v_pk_add_f32 v[56:57], v[56:57], v[66:67]
	v_pk_mul_f32 v[66:67], v[72:73], s[8:9] op_sel_hi:[1,0]
	v_mov_b32_e32 v55, v61
	v_pk_fma_f32 v[72:73], v[70:71], s[6:7], v[66:67] op_sel:[0,0,1] op_sel_hi:[1,0,0]
	v_pk_fma_f32 v[66:67], v[70:71], s[6:7], v[66:67] op_sel:[0,0,1] op_sel_hi:[1,0,0] neg_lo:[0,0,1] neg_hi:[0,0,1]
	v_pk_add_f32 v[52:53], v[0:1], v[52:53]
	v_mov_b32_e32 v70, v72
	v_mov_b32_e32 v71, v67
	v_pk_add_f32 v[52:53], v[52:53], v[54:55]
	v_mov_b32_e32 v63, v151
	v_pk_add_f32 v[56:57], v[56:57], v[70:71]
	v_pk_mul_f32 v[70:71], v[76:77], s[20:21] op_sel_hi:[1,0]
	v_pk_add_f32 v[52:53], v[52:53], v[62:63]
	v_mov_b32_e32 v65, v69
	v_pk_fma_f32 v[76:77], v[74:75], s[0:1], v[70:71] op_sel:[0,0,1] op_sel_hi:[1,0,0]
	v_pk_fma_f32 v[70:71], v[74:75], s[0:1], v[70:71] op_sel:[0,0,1] op_sel_hi:[1,0,0] neg_lo:[0,0,1] neg_hi:[0,0,1]
	v_pk_add_f32 v[52:53], v[52:53], v[64:65]
	v_mov_b32_e32 v67, v73
	v_mov_b32_e32 v75, v71
	v_pk_add_f32 v[52:53], v[52:53], v[66:67]
	v_mov_b32_e32 v71, v77
	v_pk_add_f32 v[52:53], v[52:53], v[70:71]
	global_store_dwordx2 v[2:3], v[52:53], off offset:1456
	v_pk_add_f32 v[52:53], v[0:1], v[104:105]
	v_mov_b32_e32 v147, v149
	v_pk_add_f32 v[52:53], v[52:53], v[130:131]
	v_mov_b32_e32 v85, v103
	v_pk_add_f32 v[52:53], v[52:53], v[134:135]
	v_mov_b32_e32 v107, v109
	v_pk_add_f32 v[52:53], v[52:53], v[138:139]
	v_mov_b32_e32 v111, v113
	v_pk_add_f32 v[52:53], v[52:53], v[142:143]
	v_mov_b32_e32 v115, v117
	v_pk_add_f32 v[52:53], v[52:53], v[146:147]
	global_store_dwordx2 v[2:3], v[52:53], off offset:1664
	v_pk_add_f32 v[52:53], v[0:1], v[84:85]
	v_mov_b32_e32 v119, v121
	v_pk_add_f32 v[52:53], v[52:53], v[106:107]
	v_mov_b32_e32 v123, v125
	v_pk_add_f32 v[52:53], v[52:53], v[110:111]
	v_mov_b32_e32 v59, v83
	v_pk_add_f32 v[52:53], v[52:53], v[114:115]
	;; [unrolled: 12-line block ×3, first 2 shown]
	v_mov_b32_e32 v81, v89
	v_pk_add_f32 v[28:29], v[28:29], v[34:35]
	v_mov_b32_e32 v39, v37
	v_pk_add_f32 v[0:1], v[0:1], v[10:11]
	;; [unrolled: 2-line block ×8, first 2 shown]
	v_mov_b32_e32 v23, v21
	v_mov_b32_e32 v74, v76
	v_pk_add_f32 v[52:53], v[52:53], v[94:95]
	v_mov_b32_e32 v99, v101
	v_pk_add_f32 v[28:29], v[28:29], v[46:47]
	;; [unrolled: 2-line block ×4, first 2 shown]
	v_pk_add_f32 v[52:53], v[52:53], v[98:99]
	v_pk_add_f32 v[28:29], v[28:29], v[50:51]
	;; [unrolled: 1-line block ×3, first 2 shown]
	global_store_dwordx2 v[2:3], v[56:57], off offset:1248
	global_store_dwordx2 v[2:3], v[52:53], off offset:2080
	;; [unrolled: 1-line block ×4, first 2 shown]
.LBB0_23:
	s_endpgm
	.section	.rodata,"a",@progbits
	.p2align	6, 0x0
	.amdhsa_kernel fft_rtc_back_len338_factors_13_2_13_wgs_52_tpt_26_halfLds_sp_op_CI_CI_unitstride_sbrr_dirReg
		.amdhsa_group_segment_fixed_size 0
		.amdhsa_private_segment_fixed_size 0
		.amdhsa_kernarg_size 104
		.amdhsa_user_sgpr_count 2
		.amdhsa_user_sgpr_dispatch_ptr 0
		.amdhsa_user_sgpr_queue_ptr 0
		.amdhsa_user_sgpr_kernarg_segment_ptr 1
		.amdhsa_user_sgpr_dispatch_id 0
		.amdhsa_user_sgpr_kernarg_preload_length 0
		.amdhsa_user_sgpr_kernarg_preload_offset 0
		.amdhsa_user_sgpr_private_segment_size 0
		.amdhsa_uses_dynamic_stack 0
		.amdhsa_enable_private_segment 0
		.amdhsa_system_sgpr_workgroup_id_x 1
		.amdhsa_system_sgpr_workgroup_id_y 0
		.amdhsa_system_sgpr_workgroup_id_z 0
		.amdhsa_system_sgpr_workgroup_info 0
		.amdhsa_system_vgpr_workitem_id 0
		.amdhsa_next_free_vgpr 152
		.amdhsa_next_free_sgpr 60
		.amdhsa_accum_offset 152
		.amdhsa_reserve_vcc 1
		.amdhsa_float_round_mode_32 0
		.amdhsa_float_round_mode_16_64 0
		.amdhsa_float_denorm_mode_32 3
		.amdhsa_float_denorm_mode_16_64 3
		.amdhsa_dx10_clamp 1
		.amdhsa_ieee_mode 1
		.amdhsa_fp16_overflow 0
		.amdhsa_tg_split 0
		.amdhsa_exception_fp_ieee_invalid_op 0
		.amdhsa_exception_fp_denorm_src 0
		.amdhsa_exception_fp_ieee_div_zero 0
		.amdhsa_exception_fp_ieee_overflow 0
		.amdhsa_exception_fp_ieee_underflow 0
		.amdhsa_exception_fp_ieee_inexact 0
		.amdhsa_exception_int_div_zero 0
	.end_amdhsa_kernel
	.text
.Lfunc_end0:
	.size	fft_rtc_back_len338_factors_13_2_13_wgs_52_tpt_26_halfLds_sp_op_CI_CI_unitstride_sbrr_dirReg, .Lfunc_end0-fft_rtc_back_len338_factors_13_2_13_wgs_52_tpt_26_halfLds_sp_op_CI_CI_unitstride_sbrr_dirReg
                                        ; -- End function
	.section	.AMDGPU.csdata,"",@progbits
; Kernel info:
; codeLenInByte = 8564
; NumSgprs: 66
; NumVgprs: 152
; NumAgprs: 0
; TotalNumVgprs: 152
; ScratchSize: 0
; MemoryBound: 0
; FloatMode: 240
; IeeeMode: 1
; LDSByteSize: 0 bytes/workgroup (compile time only)
; SGPRBlocks: 8
; VGPRBlocks: 18
; NumSGPRsForWavesPerEU: 66
; NumVGPRsForWavesPerEU: 152
; AccumOffset: 152
; Occupancy: 3
; WaveLimiterHint : 1
; COMPUTE_PGM_RSRC2:SCRATCH_EN: 0
; COMPUTE_PGM_RSRC2:USER_SGPR: 2
; COMPUTE_PGM_RSRC2:TRAP_HANDLER: 0
; COMPUTE_PGM_RSRC2:TGID_X_EN: 1
; COMPUTE_PGM_RSRC2:TGID_Y_EN: 0
; COMPUTE_PGM_RSRC2:TGID_Z_EN: 0
; COMPUTE_PGM_RSRC2:TIDIG_COMP_CNT: 0
; COMPUTE_PGM_RSRC3_GFX90A:ACCUM_OFFSET: 37
; COMPUTE_PGM_RSRC3_GFX90A:TG_SPLIT: 0
	.text
	.p2alignl 6, 3212836864
	.fill 256, 4, 3212836864
	.type	__hip_cuid_4e5aad47fde97cc6,@object ; @__hip_cuid_4e5aad47fde97cc6
	.section	.bss,"aw",@nobits
	.globl	__hip_cuid_4e5aad47fde97cc6
__hip_cuid_4e5aad47fde97cc6:
	.byte	0                               ; 0x0
	.size	__hip_cuid_4e5aad47fde97cc6, 1

	.ident	"AMD clang version 19.0.0git (https://github.com/RadeonOpenCompute/llvm-project roc-6.4.0 25133 c7fe45cf4b819c5991fe208aaa96edf142730f1d)"
	.section	".note.GNU-stack","",@progbits
	.addrsig
	.addrsig_sym __hip_cuid_4e5aad47fde97cc6
	.amdgpu_metadata
---
amdhsa.kernels:
  - .agpr_count:     0
    .args:
      - .actual_access:  read_only
        .address_space:  global
        .offset:         0
        .size:           8
        .value_kind:     global_buffer
      - .offset:         8
        .size:           8
        .value_kind:     by_value
      - .actual_access:  read_only
        .address_space:  global
        .offset:         16
        .size:           8
        .value_kind:     global_buffer
      - .actual_access:  read_only
        .address_space:  global
        .offset:         24
        .size:           8
        .value_kind:     global_buffer
      - .actual_access:  read_only
        .address_space:  global
        .offset:         32
        .size:           8
        .value_kind:     global_buffer
      - .offset:         40
        .size:           8
        .value_kind:     by_value
      - .actual_access:  read_only
        .address_space:  global
        .offset:         48
        .size:           8
        .value_kind:     global_buffer
      - .actual_access:  read_only
        .address_space:  global
        .offset:         56
        .size:           8
        .value_kind:     global_buffer
      - .offset:         64
        .size:           4
        .value_kind:     by_value
      - .actual_access:  read_only
        .address_space:  global
        .offset:         72
        .size:           8
        .value_kind:     global_buffer
      - .actual_access:  read_only
        .address_space:  global
        .offset:         80
        .size:           8
        .value_kind:     global_buffer
      - .actual_access:  read_only
        .address_space:  global
        .offset:         88
        .size:           8
        .value_kind:     global_buffer
      - .actual_access:  write_only
        .address_space:  global
        .offset:         96
        .size:           8
        .value_kind:     global_buffer
    .group_segment_fixed_size: 0
    .kernarg_segment_align: 8
    .kernarg_segment_size: 104
    .language:       OpenCL C
    .language_version:
      - 2
      - 0
    .max_flat_workgroup_size: 52
    .name:           fft_rtc_back_len338_factors_13_2_13_wgs_52_tpt_26_halfLds_sp_op_CI_CI_unitstride_sbrr_dirReg
    .private_segment_fixed_size: 0
    .sgpr_count:     66
    .sgpr_spill_count: 0
    .symbol:         fft_rtc_back_len338_factors_13_2_13_wgs_52_tpt_26_halfLds_sp_op_CI_CI_unitstride_sbrr_dirReg.kd
    .uniform_work_group_size: 1
    .uses_dynamic_stack: false
    .vgpr_count:     152
    .vgpr_spill_count: 0
    .wavefront_size: 64
amdhsa.target:   amdgcn-amd-amdhsa--gfx950
amdhsa.version:
  - 1
  - 2
...

	.end_amdgpu_metadata
